;; amdgpu-corpus repo=zjin-lcf/HeCBench kind=compiled arch=gfx1250 opt=O3
	.amdgcn_target "amdgcn-amd-amdhsa--gfx1250"
	.amdhsa_code_object_version 6
	.text
	.protected	_Z2fkiiiiddddPiPd       ; -- Begin function _Z2fkiiiiddddPiPd
	.globl	_Z2fkiiiiddddPiPd
	.p2align	8
	.type	_Z2fkiiiiddddPiPd,@function
_Z2fkiiiiddddPiPd:                      ; @_Z2fkiiiiddddPiPd
; %bb.0:
	s_clause 0x1
	s_load_b32 s2, s[0:1], 0x4c
	s_load_b128 s[8:11], s[0:1], 0x0
	s_bfe_u32 s4, ttmp6, 0x4000c
	s_bfe_u32 s5, ttmp6, 0x40010
	s_add_co_i32 s4, s4, 1
	s_add_co_i32 s5, s5, 1
	s_and_b32 s3, ttmp6, 15
	s_bfe_u32 s6, ttmp6, 0x40004
	s_mul_i32 s4, ttmp9, s4
	s_mul_i32 s5, ttmp7, s5
	s_getreg_b32 s7, hwreg(HW_REG_IB_STS2, 6, 4)
	v_and_b32_e32 v1, 0x3ff, v0
	v_bfe_u32 v2, v0, 10, 10
	s_add_co_i32 s3, s3, s4
	s_add_co_i32 s6, s6, s5
	s_wait_kmcnt 0x0
	s_lshr_b32 s4, s2, 16
	s_and_b32 s2, s2, 0xffff
	s_cmp_eq_u32 s7, 0
	s_cselect_b32 s3, ttmp9, s3
	s_cselect_b32 s5, ttmp7, s6
	v_mad_u32 v0, s3, s2, v1
	v_mad_u32 v1, s5, s4, v2
	s_delay_alu instid0(VALU_DEP_1) | instskip(NEXT) | instid1(VALU_DEP_1)
	v_dual_add_nc_u32 v2, 1, v0 :: v_dual_add_nc_u32 v3, 1, v1
	v_cmp_ge_i32_e32 vcc_lo, s8, v2
	s_delay_alu instid0(VALU_DEP_2) | instskip(SKIP_1) | instid1(SALU_CYCLE_1)
	v_cmp_ge_i32_e64 s2, s9, v3
	s_and_b32 s2, vcc_lo, s2
	s_and_saveexec_b32 s3, s2
	s_cbranch_execz .LBB0_22
; %bb.1:
	v_dual_sub_nc_u32 v3, s9, v3 :: v_dual_sub_nc_u32 v4, s8, v2
	s_load_b256 s[12:19], s[0:1], 0x10
	v_cvt_f64_i32_e32 v[6:7], v1
	v_cvt_f64_i32_e32 v[0:1], v0
	s_delay_alu instid0(VALU_DEP_3)
	v_cvt_f64_i32_e32 v[2:3], v3
	v_cvt_f64_i32_e32 v[4:5], v4
	s_add_co_i32 s2, s9, -1
	s_add_co_i32 s3, s8, -1
	v_cvt_f64_i32_e32 v[8:9], s2
	s_mov_b64 s[4:5], 0x3fe62e42fefa39ef
	s_wait_kmcnt 0x0
	s_delay_alu instid0(VALU_DEP_3) | instskip(NEXT) | instid1(VALU_DEP_3)
	v_mul_f64_e32 v[2:3], s[12:13], v[2:3]
	v_mul_f64_e32 v[4:5], s[14:15], v[4:5]
	s_delay_alu instid0(VALU_DEP_2) | instskip(SKIP_1) | instid1(VALU_DEP_3)
	v_fma_f64 v[2:3], s[12:13], v[6:7], -v[2:3]
	v_cvt_f64_i32_e32 v[6:7], s3
	v_fma_f64 v[4:5], s[14:15], v[0:1], -v[4:5]
	s_delay_alu instid0(VALU_DEP_3) | instskip(NEXT) | instid1(VALU_DEP_2)
	v_div_scale_f64 v[0:1], null, v[8:9], v[8:9], v[2:3]
	v_div_scale_f64 v[10:11], null, v[6:7], v[6:7], v[4:5]
	v_div_scale_f64 v[20:21], vcc_lo, v[2:3], v[8:9], v[2:3]
	s_delay_alu instid0(VALU_DEP_3) | instskip(NEXT) | instid1(VALU_DEP_2)
	v_rcp_f64_e32 v[12:13], v[0:1]
	v_rcp_f64_e32 v[14:15], v[10:11]
	s_delay_alu instid0(TRANS32_DEP_2) | instskip(NEXT) | instid1(TRANS32_DEP_1)
	v_fma_f64 v[16:17], -v[0:1], v[12:13], 1.0
	v_fma_f64 v[18:19], -v[10:11], v[14:15], 1.0
	s_delay_alu instid0(VALU_DEP_2) | instskip(NEXT) | instid1(VALU_DEP_2)
	v_fmac_f64_e32 v[12:13], v[12:13], v[16:17]
	v_fmac_f64_e32 v[14:15], v[14:15], v[18:19]
	s_delay_alu instid0(VALU_DEP_2) | instskip(NEXT) | instid1(VALU_DEP_2)
	v_fma_f64 v[16:17], -v[0:1], v[12:13], 1.0
	v_fma_f64 v[18:19], -v[10:11], v[14:15], 1.0
	s_delay_alu instid0(VALU_DEP_2) | instskip(SKIP_1) | instid1(VALU_DEP_3)
	v_fmac_f64_e32 v[12:13], v[12:13], v[16:17]
	v_div_scale_f64 v[16:17], s2, v[4:5], v[6:7], v[4:5]
	v_fmac_f64_e32 v[14:15], v[14:15], v[18:19]
	s_delay_alu instid0(VALU_DEP_3) | instskip(NEXT) | instid1(VALU_DEP_2)
	v_mul_f64_e32 v[18:19], v[20:21], v[12:13]
	v_mul_f64_e32 v[22:23], v[16:17], v[14:15]
	s_delay_alu instid0(VALU_DEP_2) | instskip(NEXT) | instid1(VALU_DEP_2)
	v_fma_f64 v[0:1], -v[0:1], v[18:19], v[20:21]
	v_fma_f64 v[10:11], -v[10:11], v[22:23], v[16:17]
	s_delay_alu instid0(VALU_DEP_2) | instskip(SKIP_1) | instid1(VALU_DEP_2)
	v_div_fmas_f64 v[0:1], v[0:1], v[12:13], v[18:19]
	s_mov_b32 vcc_lo, s2
	v_div_fmas_f64 v[10:11], v[10:11], v[14:15], v[22:23]
	s_delay_alu instid0(VALU_DEP_2) | instskip(NEXT) | instid1(VALU_DEP_2)
	v_div_fixup_f64 v[0:1], v[0:1], v[8:9], v[2:3]
	v_div_fixup_f64 v[2:3], v[10:11], v[6:7], v[4:5]
	s_delay_alu instid0(VALU_DEP_2) | instskip(SKIP_1) | instid1(VALU_DEP_3)
	v_div_scale_f64 v[4:5], null, s[12:13], s[12:13], v[0:1]
	v_div_scale_f64 v[16:17], vcc_lo, v[0:1], s[12:13], v[0:1]
	v_div_scale_f64 v[6:7], null, s[14:15], s[14:15], v[2:3]
	s_delay_alu instid0(VALU_DEP_3) | instskip(NEXT) | instid1(VALU_DEP_1)
	v_rcp_f64_e32 v[8:9], v[4:5]
	v_rcp_f64_e32 v[10:11], v[6:7]
	s_delay_alu instid0(TRANS32_DEP_2) | instskip(NEXT) | instid1(TRANS32_DEP_1)
	v_fma_f64 v[12:13], -v[4:5], v[8:9], 1.0
	v_fma_f64 v[14:15], -v[6:7], v[10:11], 1.0
	s_delay_alu instid0(VALU_DEP_2) | instskip(NEXT) | instid1(VALU_DEP_2)
	v_fmac_f64_e32 v[8:9], v[8:9], v[12:13]
	v_fmac_f64_e32 v[10:11], v[10:11], v[14:15]
	s_delay_alu instid0(VALU_DEP_2) | instskip(NEXT) | instid1(VALU_DEP_2)
	v_fma_f64 v[12:13], -v[4:5], v[8:9], 1.0
	v_fma_f64 v[14:15], -v[6:7], v[10:11], 1.0
	s_delay_alu instid0(VALU_DEP_2) | instskip(SKIP_1) | instid1(VALU_DEP_3)
	v_fmac_f64_e32 v[8:9], v[8:9], v[12:13]
	v_div_scale_f64 v[12:13], s2, v[2:3], s[14:15], v[2:3]
	v_fmac_f64_e32 v[10:11], v[10:11], v[14:15]
	s_delay_alu instid0(VALU_DEP_3) | instskip(NEXT) | instid1(VALU_DEP_2)
	v_mul_f64_e32 v[14:15], v[16:17], v[8:9]
	v_mul_f64_e32 v[18:19], v[12:13], v[10:11]
	s_delay_alu instid0(VALU_DEP_2) | instskip(NEXT) | instid1(VALU_DEP_2)
	v_fma_f64 v[4:5], -v[4:5], v[14:15], v[16:17]
	v_fma_f64 v[6:7], -v[6:7], v[18:19], v[12:13]
	s_delay_alu instid0(VALU_DEP_2) | instskip(SKIP_2) | instid1(VALU_DEP_2)
	v_div_fmas_f64 v[4:5], v[4:5], v[8:9], v[14:15]
	s_mov_b32 vcc_lo, s2
	s_mov_b64 s[2:3], 0x3fe5555555555555
	v_div_fmas_f64 v[8:9], v[6:7], v[10:11], v[18:19]
	s_delay_alu instid0(VALU_DEP_2) | instskip(NEXT) | instid1(VALU_DEP_2)
	v_div_fixup_f64 v[6:7], v[4:5], s[12:13], v[0:1]
	v_div_fixup_f64 v[4:5], v[8:9], s[14:15], v[2:3]
	s_delay_alu instid0(VALU_DEP_2) | instskip(NEXT) | instid1(VALU_DEP_2)
	v_frexp_mant_f64_e64 v[8:9], |v[6:7]|
	v_frexp_mant_f64_e64 v[10:11], |v[4:5]|
	s_delay_alu instid0(VALU_DEP_2) | instskip(NEXT) | instid1(VALU_DEP_2)
	v_cmp_gt_f64_e32 vcc_lo, s[2:3], v[8:9]
	v_cmp_gt_f64_e64 s2, s[2:3], v[10:11]
	v_cndmask_b32_e64 v12, 0, 1, vcc_lo
	s_delay_alu instid0(VALU_DEP_2) | instskip(NEXT) | instid1(VALU_DEP_2)
	v_cndmask_b32_e64 v13, 0, 1, s2
	v_ldexp_f64 v[8:9], v[8:9], v12
	s_delay_alu instid0(VALU_DEP_2) | instskip(NEXT) | instid1(VALU_DEP_2)
	v_ldexp_f64 v[10:11], v[10:11], v13
	v_add_f64_e32 v[12:13], 1.0, v[8:9]
	v_add_f64_e32 v[24:25], -1.0, v[8:9]
	s_delay_alu instid0(VALU_DEP_3) | instskip(SKIP_1) | instid1(VALU_DEP_4)
	v_add_f64_e32 v[14:15], 1.0, v[10:11]
	v_add_f64_e32 v[26:27], -1.0, v[10:11]
	v_rcp_f64_e32 v[16:17], v[12:13]
	v_add_f64_e32 v[28:29], -1.0, v[12:13]
	s_delay_alu instid0(VALU_DEP_3) | instskip(SKIP_1) | instid1(VALU_DEP_2)
	v_rcp_f64_e32 v[18:19], v[14:15]
	v_add_f64_e32 v[30:31], -1.0, v[14:15]
	v_add_f64_e64 v[8:9], v[8:9], -v[28:29]
	s_delay_alu instid0(VALU_DEP_2) | instskip(NEXT) | instid1(TRANS32_DEP_2)
	v_add_f64_e64 v[10:11], v[10:11], -v[30:31]
	v_fma_f64 v[20:21], -v[12:13], v[16:17], 1.0
	s_delay_alu instid0(TRANS32_DEP_1) | instskip(NEXT) | instid1(VALU_DEP_2)
	v_fma_f64 v[22:23], -v[14:15], v[18:19], 1.0
	v_fmac_f64_e32 v[16:17], v[20:21], v[16:17]
	s_delay_alu instid0(VALU_DEP_2) | instskip(NEXT) | instid1(VALU_DEP_2)
	v_fmac_f64_e32 v[18:19], v[22:23], v[18:19]
	v_fma_f64 v[20:21], -v[12:13], v[16:17], 1.0
	s_delay_alu instid0(VALU_DEP_2) | instskip(NEXT) | instid1(VALU_DEP_2)
	v_fma_f64 v[22:23], -v[14:15], v[18:19], 1.0
	v_fmac_f64_e32 v[16:17], v[20:21], v[16:17]
	s_delay_alu instid0(VALU_DEP_2) | instskip(NEXT) | instid1(VALU_DEP_2)
	v_fmac_f64_e32 v[18:19], v[22:23], v[18:19]
	v_mul_f64_e32 v[20:21], v[24:25], v[16:17]
	s_delay_alu instid0(VALU_DEP_2) | instskip(NEXT) | instid1(VALU_DEP_2)
	v_mul_f64_e32 v[22:23], v[26:27], v[18:19]
	v_mul_f64_e32 v[32:33], v[12:13], v[20:21]
	s_delay_alu instid0(VALU_DEP_2) | instskip(NEXT) | instid1(VALU_DEP_2)
	v_mul_f64_e32 v[34:35], v[14:15], v[22:23]
	v_fma_f64 v[12:13], v[20:21], v[12:13], -v[32:33]
	s_delay_alu instid0(VALU_DEP_2) | instskip(NEXT) | instid1(VALU_DEP_2)
	v_fma_f64 v[14:15], v[22:23], v[14:15], -v[34:35]
	v_fmac_f64_e32 v[12:13], v[20:21], v[8:9]
	s_delay_alu instid0(VALU_DEP_2) | instskip(NEXT) | instid1(VALU_DEP_2)
	v_fmac_f64_e32 v[14:15], v[22:23], v[10:11]
	v_add_f64_e32 v[8:9], v[32:33], v[12:13]
	s_delay_alu instid0(VALU_DEP_2) | instskip(NEXT) | instid1(VALU_DEP_2)
	v_add_f64_e32 v[10:11], v[34:35], v[14:15]
	v_add_f64_e64 v[28:29], v[24:25], -v[8:9]
	v_add_f64_e64 v[32:33], v[8:9], -v[32:33]
	s_delay_alu instid0(VALU_DEP_3) | instskip(SKIP_1) | instid1(VALU_DEP_4)
	v_add_f64_e64 v[30:31], v[26:27], -v[10:11]
	v_add_f64_e64 v[34:35], v[10:11], -v[34:35]
	v_add_f64_e64 v[24:25], v[24:25], -v[28:29]
	s_delay_alu instid0(VALU_DEP_4) | instskip(SKIP_4) | instid1(VALU_DEP_3)
	v_add_f64_e64 v[12:13], v[32:33], -v[12:13]
	v_mov_b64_e32 v[32:33], 0x3fbe25e43abe935a
	v_add_f64_e64 v[26:27], v[26:27], -v[30:31]
	v_add_f64_e64 v[14:15], v[34:35], -v[14:15]
	;; [unrolled: 1-line block ×4, first 2 shown]
	s_delay_alu instid0(VALU_DEP_2) | instskip(NEXT) | instid1(VALU_DEP_2)
	v_add_f64_e32 v[8:9], v[12:13], v[8:9]
	v_add_f64_e32 v[10:11], v[14:15], v[10:11]
	s_delay_alu instid0(VALU_DEP_2) | instskip(SKIP_1) | instid1(VALU_DEP_3)
	v_add_f64_e32 v[8:9], v[28:29], v[8:9]
	v_mov_b64_e32 v[28:29], 0x3fba6564968915a9
	v_add_f64_e32 v[10:11], v[30:31], v[10:11]
	s_delay_alu instid0(VALU_DEP_3) | instskip(NEXT) | instid1(VALU_DEP_2)
	v_mul_f64_e32 v[8:9], v[16:17], v[8:9]
	v_mul_f64_e32 v[14:15], v[18:19], v[10:11]
	s_delay_alu instid0(VALU_DEP_2) | instskip(NEXT) | instid1(VALU_DEP_2)
	v_add_f64_e32 v[16:17], v[20:21], v[8:9]
	v_add_f64_e32 v[10:11], v[22:23], v[14:15]
	s_delay_alu instid0(VALU_DEP_2) | instskip(SKIP_1) | instid1(VALU_DEP_3)
	v_add_f64_e64 v[12:13], v[16:17], -v[20:21]
	v_mul_f64_e32 v[20:21], v[16:17], v[16:17]
	v_add_f64_e64 v[18:19], v[10:11], -v[22:23]
	v_mul_f64_e32 v[22:23], v[10:11], v[10:11]
	s_delay_alu instid0(VALU_DEP_4) | instskip(NEXT) | instid1(VALU_DEP_3)
	v_add_f64_e64 v[12:13], v[8:9], -v[12:13]
	v_add_f64_e64 v[8:9], v[14:15], -v[18:19]
	v_fma_f64 v[14:15], v[16:17], v[16:17], -v[20:21]
	s_delay_alu instid0(VALU_DEP_4) | instskip(NEXT) | instid1(VALU_DEP_4)
	v_fma_f64 v[18:19], v[10:11], v[10:11], -v[22:23]
	v_add_f64_e32 v[24:25], v[12:13], v[12:13]
	s_delay_alu instid0(VALU_DEP_4) | instskip(NEXT) | instid1(VALU_DEP_2)
	v_add_f64_e32 v[26:27], v[8:9], v[8:9]
	v_fmac_f64_e32 v[14:15], v[16:17], v[24:25]
	s_delay_alu instid0(VALU_DEP_2) | instskip(NEXT) | instid1(VALU_DEP_2)
	v_fmac_f64_e32 v[18:19], v[10:11], v[26:27]
	v_add_f64_e32 v[24:25], v[20:21], v[14:15]
	s_delay_alu instid0(VALU_DEP_2) | instskip(NEXT) | instid1(VALU_DEP_2)
	v_add_f64_e32 v[26:27], v[22:23], v[18:19]
	v_fmamk_f64 v[30:31], v[24:25], 0x3fbdee674222de17, v[28:29]
	v_add_f64_e64 v[20:21], v[24:25], -v[20:21]
	v_mul_f64_e32 v[38:39], v[16:17], v[24:25]
	s_delay_alu instid0(VALU_DEP_4) | instskip(SKIP_2) | instid1(VALU_DEP_1)
	v_fmac_f64_e32 v[28:29], 0x3fbdee674222de17, v[26:27]
	v_add_f64_e64 v[22:23], v[26:27], -v[22:23]
	v_fmaak_f64 v[30:31], v[24:25], v[30:31], 0x3fbe25e43abe935a
	v_fmaak_f64 v[30:31], v[24:25], v[30:31], 0x3fc110ef47e6c9c2
	s_delay_alu instid0(VALU_DEP_1) | instskip(NEXT) | instid1(VALU_DEP_1)
	v_fmaak_f64 v[30:31], v[24:25], v[30:31], 0x3fc3b13bcfa74449
	v_fmaak_f64 v[30:31], v[24:25], v[30:31], 0x3fc745d171bf3c30
	v_add_f64_e64 v[14:15], v[14:15], -v[20:21]
	v_fmac_f64_e32 v[32:33], v[26:27], v[28:29]
	v_mov_b64_e32 v[28:29], 0x3fc110ef47e6c9c2
	v_add_f64_e64 v[18:19], v[18:19], -v[22:23]
	s_delay_alu instid0(VALU_DEP_2) | instskip(SKIP_1) | instid1(VALU_DEP_1)
	v_fmac_f64_e32 v[28:29], v[26:27], v[32:33]
	v_mov_b64_e32 v[32:33], 0x3fc3b13bcfa74449
	v_fmac_f64_e32 v[32:33], v[26:27], v[28:29]
	v_mov_b64_e32 v[28:29], 0x3fc745d171bf3c30
	s_delay_alu instid0(VALU_DEP_1) | instskip(SKIP_1) | instid1(VALU_DEP_1)
	v_fmac_f64_e32 v[28:29], v[26:27], v[32:33]
	v_mov_b64_e32 v[32:33], 0x3fcc71c71c7792ce
	v_fmac_f64_e32 v[32:33], v[26:27], v[28:29]
	v_fmaak_f64 v[28:29], v[24:25], v[30:31], 0x3fcc71c71c7792ce
	v_mov_b64_e32 v[30:31], 0x3fd24924924920da
	s_delay_alu instid0(VALU_DEP_2) | instskip(NEXT) | instid1(VALU_DEP_1)
	v_fmaak_f64 v[28:29], v[24:25], v[28:29], 0x3fd24924924920da
	v_fmaak_f64 v[28:29], v[24:25], v[28:29], 0x3fd999999999999c
	s_delay_alu instid0(VALU_DEP_1) | instskip(NEXT) | instid1(VALU_DEP_4)
	v_mul_f64_e32 v[34:35], v[24:25], v[28:29]
	v_fmac_f64_e32 v[30:31], v[26:27], v[32:33]
	v_mov_b64_e32 v[32:33], 0x3fd999999999999c
	s_delay_alu instid0(VALU_DEP_3) | instskip(NEXT) | instid1(VALU_DEP_2)
	v_fma_f64 v[20:21], v[24:25], v[28:29], -v[34:35]
	v_fmac_f64_e32 v[32:33], v[26:27], v[30:31]
	s_delay_alu instid0(VALU_DEP_2) | instskip(NEXT) | instid1(VALU_DEP_2)
	v_fmac_f64_e32 v[20:21], v[14:15], v[28:29]
	v_mul_f64_e32 v[28:29], v[26:27], v[32:33]
	s_delay_alu instid0(VALU_DEP_2) | instskip(NEXT) | instid1(VALU_DEP_2)
	v_add_f64_e32 v[30:31], v[34:35], v[20:21]
	v_fma_f64 v[22:23], v[26:27], v[32:33], -v[28:29]
	s_delay_alu instid0(VALU_DEP_2) | instskip(SKIP_1) | instid1(VALU_DEP_3)
	v_add_f64_e32 v[36:37], 0x3fe5555555555555, v[30:31]
	v_add_f64_e64 v[34:35], v[30:31], -v[34:35]
	v_fmac_f64_e32 v[22:23], v[18:19], v[32:33]
	s_delay_alu instid0(VALU_DEP_3) | instskip(NEXT) | instid1(VALU_DEP_3)
	v_add_f64_e32 v[32:33], 0xbfe5555555555555, v[36:37]
	v_add_f64_e64 v[20:21], v[20:21], -v[34:35]
	v_fma_f64 v[34:35], v[24:25], v[16:17], -v[38:39]
	s_delay_alu instid0(VALU_DEP_4) | instskip(NEXT) | instid1(VALU_DEP_4)
	v_add_f64_e32 v[40:41], v[28:29], v[22:23]
	v_add_f64_e64 v[30:31], v[30:31], -v[32:33]
	s_delay_alu instid0(VALU_DEP_4) | instskip(NEXT) | instid1(VALU_DEP_4)
	v_add_f64_e32 v[20:21], 0x3c8543b0d5df274d, v[20:21]
	v_fmac_f64_e32 v[34:35], v[24:25], v[12:13]
	v_mul_f64_e32 v[32:33], v[10:11], v[26:27]
	v_ldexp_f64 v[12:13], v[12:13], 1
	v_add_f64_e32 v[24:25], 0x3fe5555555555555, v[40:41]
	v_add_f64_e64 v[28:29], v[40:41], -v[28:29]
	v_add_f64_e32 v[20:21], v[20:21], v[30:31]
	v_fmac_f64_e32 v[34:35], v[14:15], v[16:17]
	v_ldexp_f64 v[16:17], v[16:17], 1
	v_add_f64_e32 v[14:15], 0xbfe5555555555555, v[24:25]
	v_add_f64_e64 v[22:23], v[22:23], -v[28:29]
	v_fma_f64 v[28:29], v[26:27], v[10:11], -v[32:33]
	v_add_f64_e32 v[30:31], v[36:37], v[20:21]
	v_add_f64_e32 v[42:43], v[38:39], v[34:35]
	v_add_f64_e64 v[14:15], v[40:41], -v[14:15]
	v_add_f64_e32 v[22:23], 0x3c8543b0d5df274d, v[22:23]
	v_fmac_f64_e32 v[28:29], v[26:27], v[8:9]
	v_ldexp_f64 v[8:9], v[8:9], 1
	v_mov_b64_e32 v[40:41], 0x3ec71dee623fde64
	v_add_f64_e64 v[26:27], v[36:37], -v[30:31]
	v_mul_f64_e32 v[36:37], v[42:43], v[30:31]
	v_add_f64_e32 v[14:15], v[22:23], v[14:15]
	v_fmac_f64_e32 v[28:29], v[18:19], v[10:11]
	v_add_f64_e64 v[18:19], v[42:43], -v[38:39]
	v_ldexp_f64 v[10:11], v[10:11], 1
	v_add_f64_e32 v[20:21], v[20:21], v[26:27]
	v_fma_f64 v[22:23], v[42:43], v[30:31], -v[36:37]
	v_add_f64_e32 v[26:27], v[24:25], v[14:15]
	v_add_f64_e32 v[38:39], v[32:33], v[28:29]
	v_add_f64_e64 v[18:19], v[34:35], -v[18:19]
	v_frexp_exp_i32_f64_e32 v34, v[4:5]
	v_fmac_f64_e32 v[22:23], v[42:43], v[20:21]
	v_add_f64_e64 v[20:21], v[24:25], -v[26:27]
	v_mul_f64_e32 v[24:25], v[38:39], v[26:27]
	s_delay_alu instid0(VALU_DEP_4)
	v_subrev_co_ci_u32_e64 v34, null, 0, v34, s2
	v_cmp_eq_f64_e64 s2, 1.0, v[4:5]
	v_fmac_f64_e32 v[22:23], v[18:19], v[30:31]
	v_add_f64_e64 v[18:19], v[38:39], -v[32:33]
	v_frexp_exp_i32_f64_e32 v32, v[6:7]
	v_add_f64_e32 v[14:15], v[14:15], v[20:21]
	v_fma_f64 v[20:21], v[38:39], v[26:27], -v[24:25]
	v_add_f64_e32 v[30:31], v[36:37], v[22:23]
	v_add_f64_e64 v[18:19], v[28:29], -v[18:19]
	s_delay_alu instid0(VALU_DEP_3) | instskip(SKIP_2) | instid1(VALU_DEP_2)
	v_fmac_f64_e32 v[20:21], v[38:39], v[14:15]
	v_subrev_co_ci_u32_e64 v14, null, 0, v32, vcc_lo
	v_cmp_eq_f64_e32 vcc_lo, 1.0, v[6:7]
	v_cvt_f64_i32_e32 v[14:15], v14
	v_add_f64_e32 v[28:29], v[16:17], v[30:31]
	v_add_f64_e64 v[32:33], v[30:31], -v[36:37]
	v_fmac_f64_e32 v[20:21], v[18:19], v[26:27]
	s_delay_alu instid0(VALU_DEP_4) | instskip(NEXT) | instid1(VALU_DEP_4)
	v_mul_f64_e32 v[18:19], 0x3fe62e42fefa39ef, v[14:15]
	v_add_f64_e64 v[16:17], v[28:29], -v[16:17]
	s_delay_alu instid0(VALU_DEP_4) | instskip(NEXT) | instid1(VALU_DEP_4)
	v_add_f64_e64 v[22:23], v[22:23], -v[32:33]
	v_add_f64_e32 v[26:27], v[24:25], v[20:21]
	s_delay_alu instid0(VALU_DEP_4) | instskip(NEXT) | instid1(VALU_DEP_4)
	v_fma_f64 v[32:33], v[14:15], s[4:5], -v[18:19]
	v_add_f64_e64 v[16:17], v[30:31], -v[16:17]
	s_delay_alu instid0(VALU_DEP_4)
	v_add_f64_e32 v[12:13], v[12:13], v[22:23]
	v_cvt_f64_i32_e32 v[22:23], v34
	v_add_f64_e32 v[30:31], v[10:11], v[26:27]
	v_add_f64_e64 v[24:25], v[26:27], -v[24:25]
	v_fmac_f64_e32 v[32:33], 0x3c7abc9e3b39803f, v[14:15]
	v_add_f64_e32 v[12:13], v[12:13], v[16:17]
	v_mul_f64_e32 v[14:15], 0x3fe62e42fefa39ef, v[22:23]
	v_add_f64_e64 v[10:11], v[30:31], -v[10:11]
	v_add_f64_e64 v[16:17], v[20:21], -v[24:25]
	v_add_f64_e32 v[20:21], v[18:19], v[32:33]
	v_add_f64_e32 v[24:25], v[28:29], v[12:13]
	v_fma_f64 v[34:35], v[22:23], s[4:5], -v[14:15]
	v_add_f64_e64 v[10:11], v[26:27], -v[10:11]
	v_add_f64_e32 v[8:9], v[8:9], v[16:17]
	v_add_f64_e64 v[18:19], v[20:21], -v[18:19]
	v_add_f64_e32 v[16:17], v[20:21], v[24:25]
	v_fmac_f64_e32 v[34:35], 0x3c7abc9e3b39803f, v[22:23]
	v_add_f64_e64 v[28:29], v[24:25], -v[28:29]
	v_add_f64_e32 v[8:9], v[8:9], v[10:11]
	v_add_f64_e64 v[18:19], v[32:33], -v[18:19]
	v_add_f64_e64 v[10:11], v[16:17], -v[20:21]
	v_add_f64_e32 v[22:23], v[14:15], v[34:35]
	v_add_f64_e64 v[12:13], v[12:13], -v[28:29]
	v_add_f64_e32 v[26:27], v[30:31], v[8:9]
	s_delay_alu instid0(VALU_DEP_4) | instskip(SKIP_1) | instid1(VALU_DEP_4)
	v_add_f64_e64 v[36:37], v[16:17], -v[10:11]
	v_add_f64_e64 v[10:11], v[24:25], -v[10:11]
	v_add_f64_e32 v[28:29], v[18:19], v[12:13]
	v_add_f64_e64 v[14:15], v[22:23], -v[14:15]
	v_add_f64_e32 v[38:39], v[22:23], v[26:27]
	v_add_f64_e64 v[20:21], v[20:21], -v[36:37]
	v_mov_b64_e32 v[36:37], 0x3e928af3fca7ab0c
	v_add_f64_e64 v[32:33], v[28:29], -v[18:19]
	v_add_f64_e64 v[14:15], v[34:35], -v[14:15]
	;; [unrolled: 1-line block ×3, first 2 shown]
	v_add_f64_e32 v[10:11], v[10:11], v[20:21]
	v_add_f64_e64 v[20:21], v[26:27], -v[30:31]
	v_add_f64_e64 v[12:13], v[12:13], -v[32:33]
	s_delay_alu instid0(VALU_DEP_4) | instskip(NEXT) | instid1(VALU_DEP_4)
	v_add_f64_e64 v[30:31], v[38:39], -v[24:25]
	v_add_f64_e32 v[10:11], v[28:29], v[10:11]
	s_delay_alu instid0(VALU_DEP_4)
	v_add_f64_e64 v[8:9], v[8:9], -v[20:21]
	v_add_f64_e64 v[20:21], v[26:27], -v[24:25]
	;; [unrolled: 1-line block ×4, first 2 shown]
	v_add_f64_e32 v[26:27], v[16:17], v[10:11]
	v_add_f64_e32 v[28:29], v[14:15], v[8:9]
	s_delay_alu instid0(VALU_DEP_4) | instskip(NEXT) | instid1(VALU_DEP_4)
	v_add_f64_e64 v[18:19], v[18:19], -v[24:25]
	v_add_f64_e32 v[20:21], v[20:21], v[22:23]
	s_delay_alu instid0(VALU_DEP_4) | instskip(NEXT) | instid1(VALU_DEP_4)
	v_add_f64_e64 v[16:17], v[26:27], -v[16:17]
	v_add_f64_e64 v[22:23], v[28:29], -v[14:15]
	s_delay_alu instid0(VALU_DEP_4) | instskip(NEXT) | instid1(VALU_DEP_4)
	v_add_f64_e32 v[12:13], v[12:13], v[18:19]
	v_add_f64_e32 v[20:21], v[28:29], v[20:21]
	s_delay_alu instid0(VALU_DEP_4) | instskip(NEXT) | instid1(VALU_DEP_4)
	v_add_f64_e64 v[10:11], v[10:11], -v[16:17]
	v_add_f64_e64 v[16:17], v[28:29], -v[22:23]
	;; [unrolled: 1-line block ×3, first 2 shown]
	s_delay_alu instid0(VALU_DEP_4) | instskip(NEXT) | instid1(VALU_DEP_4)
	v_add_f64_e32 v[18:19], v[38:39], v[20:21]
	v_add_f64_e32 v[10:11], v[12:13], v[10:11]
	s_delay_alu instid0(VALU_DEP_4) | instskip(NEXT) | instid1(VALU_DEP_3)
	v_add_f64_e64 v[12:13], v[14:15], -v[16:17]
	v_add_f64_e64 v[14:15], v[18:19], -v[38:39]
	s_delay_alu instid0(VALU_DEP_3) | instskip(NEXT) | instid1(VALU_DEP_3)
	v_add_f64_e32 v[16:17], v[26:27], v[10:11]
	v_add_f64_e32 v[8:9], v[8:9], v[12:13]
	s_delay_alu instid0(VALU_DEP_3) | instskip(SKIP_1) | instid1(VALU_DEP_1)
	v_dual_add_f64 v[12:13], v[20:21], -v[14:15] :: v_dual_mov_b32 v14, 0
	v_cndmask_b32_e64 v15, 2.0, 0x3ff00000, vcc_lo
	v_mul_f64_e32 v[24:25], 0.5, v[14:15]
	v_add_f64_e64 v[20:21], v[16:17], -v[26:27]
	v_mul_f64_e32 v[22:23], v[14:15], v[16:17]
	v_add_f64_e32 v[8:9], v[8:9], v[12:13]
	v_trunc_f64_e32 v[12:13], v[14:15]
	s_delay_alu instid0(VALU_DEP_4) | instskip(NEXT) | instid1(VALU_DEP_4)
	v_add_f64_e64 v[10:11], v[10:11], -v[20:21]
	v_fma_f64 v[16:17], v[14:15], v[16:17], -v[22:23]
	s_delay_alu instid0(VALU_DEP_4) | instskip(NEXT) | instid1(VALU_DEP_4)
	v_add_f64_e32 v[20:21], v[18:19], v[8:9]
	v_cmp_eq_f64_e32 vcc_lo, v[12:13], v[14:15]
	s_delay_alu instid0(VALU_DEP_3) | instskip(SKIP_3) | instid1(VALU_DEP_3)
	v_fmac_f64_e32 v[16:17], v[14:15], v[10:11]
	v_cndmask_b32_e64 v15, 2.0, 0x3ff00000, s2
	v_cmp_class_f64_e64 s2, v[22:23], 0x204
	v_add_f64_e64 v[10:11], v[20:21], -v[18:19]
	v_mul_f64_e32 v[12:13], v[14:15], v[20:21]
	s_delay_alu instid0(VALU_DEP_2) | instskip(NEXT) | instid1(VALU_DEP_2)
	v_add_f64_e64 v[8:9], v[8:9], -v[10:11]
	v_fma_f64 v[10:11], v[14:15], v[20:21], -v[12:13]
	v_cmp_class_f64_e64 s3, v[12:13], 0x204
	s_delay_alu instid0(VALU_DEP_2) | instskip(SKIP_1) | instid1(VALU_DEP_2)
	v_fmac_f64_e32 v[10:11], v[14:15], v[8:9]
	v_add_f64_e32 v[8:9], v[22:23], v[16:17]
	v_add_f64_e32 v[18:19], v[12:13], v[10:11]
	s_delay_alu instid0(VALU_DEP_2) | instskip(SKIP_1) | instid1(VALU_DEP_2)
	v_dual_cndmask_b32 v21, v9, v23, s2 :: v_dual_cndmask_b32 v20, v8, v22, s2
	v_add_f64_e64 v[8:9], v[8:9], -v[22:23]
	v_mul_f64_e32 v[28:29], 0x3ff71547652b82fe, v[20:21]
	v_cmp_neq_f64_e64 s2, 0x7ff00000, |v[20:21]|
	v_cmp_ngt_f64_e64 s4, 0xc090cc00, v[20:21]
	v_dual_cndmask_b32 v27, v19, v13, s3 :: v_dual_cndmask_b32 v26, v18, v12, s3
	v_add_f64_e64 v[12:13], v[18:19], -v[12:13]
	v_cmp_nlt_f64_e64 s3, 0x40900000, v[20:21]
	v_add_f64_e64 v[8:9], v[16:17], -v[8:9]
	s_delay_alu instid0(VALU_DEP_4)
	v_mul_f64_e32 v[30:31], 0x3ff71547652b82fe, v[26:27]
	v_rndne_f64_e32 v[28:29], v[28:29]
	v_cmp_nlt_f64_e64 s6, 0x40900000, v[26:27]
	v_cmp_ngt_f64_e64 s7, 0xc090cc00, v[26:27]
	v_cmp_neq_f64_e64 s5, 0x7ff00000, |v[26:27]|
	v_add_f64_e64 v[10:11], v[10:11], -v[12:13]
	v_dual_cndmask_b32 v9, 0, v9, s2 :: v_dual_cndmask_b32 v8, 0, v8, s2
	v_rndne_f64_e32 v[30:31], v[30:31]
	v_fmamk_f64 v[32:33], v[28:29], 0xbfe62e42fefa39ef, v[20:21]
	s_and_b32 s2, s4, s3
	s_delay_alu instid0(VALU_DEP_1) | instskip(SKIP_1) | instid1(VALU_DEP_4)
	v_fmac_f64_e32 v[32:33], 0xbc7abc9e3b39803f, v[28:29]
	v_dual_cndmask_b32 v11, 0, v11, s5 :: v_dual_cndmask_b32 v10, 0, v10, s5
	v_fmamk_f64 v[34:35], v[30:31], 0xbfe62e42fefa39ef, v[26:27]
	s_delay_alu instid0(VALU_DEP_1) | instskip(NEXT) | instid1(VALU_DEP_4)
	v_fmac_f64_e32 v[34:35], 0xbc7abc9e3b39803f, v[30:31]
	v_fmamk_f64 v[38:39], v[32:33], 0x3e5ade156a5dcb37, v[36:37]
	s_delay_alu instid0(VALU_DEP_2) | instskip(NEXT) | instid1(VALU_DEP_1)
	v_fmac_f64_e32 v[36:37], 0x3e5ade156a5dcb37, v[34:35]
	v_fmac_f64_e32 v[40:41], v[34:35], v[36:37]
	v_mov_b64_e32 v[36:37], 0x3efa01997c89e6b0
	s_delay_alu instid0(VALU_DEP_1) | instskip(SKIP_1) | instid1(VALU_DEP_1)
	v_fmac_f64_e32 v[36:37], v[34:35], v[40:41]
	v_mov_b64_e32 v[40:41], 0x3f2a01a014761f6e
	v_fmac_f64_e32 v[40:41], v[34:35], v[36:37]
	v_mov_b64_e32 v[36:37], 0x3f56c16c1852b7b0
	s_delay_alu instid0(VALU_DEP_1) | instskip(SKIP_1) | instid1(VALU_DEP_1)
	v_fmac_f64_e32 v[36:37], v[34:35], v[40:41]
	v_mov_b64_e32 v[40:41], 0x3f81111111122322
	;; [unrolled: 5-line block ×3, first 2 shown]
	v_fmac_f64_e32 v[40:41], v[34:35], v[36:37]
	v_fmaak_f64 v[36:37], v[32:33], v[38:39], 0x3ec71dee623fde64
	v_mov_b64_e32 v[38:39], 0x3fe000000000000b
	s_delay_alu instid0(VALU_DEP_2) | instskip(NEXT) | instid1(VALU_DEP_1)
	v_fmaak_f64 v[36:37], v[32:33], v[36:37], 0x3efa01997c89e6b0
	v_fmaak_f64 v[36:37], v[32:33], v[36:37], 0x3f2a01a014761f6e
	s_delay_alu instid0(VALU_DEP_1) | instskip(NEXT) | instid1(VALU_DEP_1)
	v_fmaak_f64 v[36:37], v[32:33], v[36:37], 0x3f56c16c1852b7b0
	v_fmaak_f64 v[36:37], v[32:33], v[36:37], 0x3f81111111122322
	v_fmac_f64_e32 v[38:39], v[34:35], v[40:41]
	v_cvt_i32_f64_e32 v40, v[28:29]
	s_delay_alu instid0(VALU_DEP_3) | instskip(NEXT) | instid1(VALU_DEP_1)
	v_fmaak_f64 v[36:37], v[32:33], v[36:37], 0x3fa55555555502a1
	v_fmaak_f64 v[36:37], v[32:33], v[36:37], 0x3fc5555555555511
	s_delay_alu instid0(VALU_DEP_1) | instskip(NEXT) | instid1(VALU_DEP_1)
	v_fmaak_f64 v[36:37], v[32:33], v[36:37], 0x3fe000000000000b
	v_fma_f64 v[36:37], v[32:33], v[36:37], 1.0
	v_fma_f64 v[38:39], v[34:35], v[38:39], 1.0
	s_delay_alu instid0(VALU_DEP_2) | instskip(SKIP_1) | instid1(VALU_DEP_3)
	v_fma_f64 v[28:29], v[32:33], v[36:37], 1.0
	v_cvt_i32_f64_e32 v32, v[30:31]
	v_fma_f64 v[30:31], v[34:35], v[38:39], 1.0
	s_delay_alu instid0(VALU_DEP_3) | instskip(SKIP_1) | instid1(VALU_DEP_3)
	v_ldexp_f64 v[18:19], v[28:29], v40
	v_mul_f64_e32 v[28:29], 0.5, v[14:15]
	v_ldexp_f64 v[22:23], v[30:31], v32
	v_trunc_f64_e32 v[32:33], v[14:15]
	v_trunc_f64_e32 v[30:31], v[24:25]
	v_cndmask_b32_e64 v16, 0x7ff00000, v19, s3
	v_trunc_f64_e32 v[12:13], v[28:29]
	v_cndmask_b32_e64 v17, 0x7ff00000, v23, s6
	v_cmp_eq_f64_e64 s9, v[32:33], v[14:15]
	s_delay_alu instid0(VALU_DEP_4) | instskip(SKIP_2) | instid1(SALU_CYCLE_1)
	v_dual_cndmask_b32 v15, 0, v16, s4 :: v_dual_cndmask_b32 v14, 0, v18, s2
	v_cmp_neq_f64_e64 s8, v[30:31], v[24:25]
	s_and_b32 s2, s7, s6
	v_dual_cndmask_b32 v17, 0, v17, s7 :: v_dual_cndmask_b32 v16, 0, v22, s2
	v_fma_f64 v[8:9], v[14:15], v[8:9], v[14:15]
	v_cmp_class_f64_e64 s2, v[14:15], 0x204
	v_cmp_eq_f64_e64 s6, 0, v[4:5]
	v_cmp_class_f64_e64 s7, v[6:7], 0x204
	v_fma_f64 v[10:11], v[16:17], v[10:11], v[16:17]
	v_cmp_class_f64_e64 s4, v[16:17], 0x204
	v_cmp_neq_f64_e64 s3, v[12:13], v[28:29]
	s_and_b32 s5, vcc_lo, s8
	v_cmp_class_f64_e64 s8, v[4:5], 0x204
	v_cndmask_b32_e64 v12, 0x3ff00000, v7, s5
	v_dual_cndmask_b32 v9, v9, v15, s2 :: v_dual_cndmask_b32 v8, v8, v14, s2
	v_cndmask_b32_e64 v18, 0x7ff00000, 0, s6
	v_dual_cndmask_b32 v10, v10, v16, s4 :: v_dual_cndmask_b32 v11, v11, v17, s4
	s_delay_alu instid0(VALU_DEP_3) | instskip(SKIP_1) | instid1(VALU_DEP_3)
	v_bfi_b32 v9, 0x7fffffff, v9, v12
	v_cmp_eq_f64_e64 s4, 0, v[6:7]
	v_dual_cndmask_b32 v17, 0, v7, s5 :: v_dual_cndmask_b32 v15, 0, v10, s9
	s_delay_alu instid0(VALU_DEP_3) | instskip(SKIP_4) | instid1(VALU_DEP_2)
	v_cndmask_b32_e32 v12, 0x7ff80000, v9, vcc_lo
	s_and_b32 s2, s9, s3
	v_cmp_gt_f64_e64 s3, 0, v[4:5]
	v_cndmask_b32_e64 v13, 0x3ff00000, v5, s2
	v_cndmask_b32_e64 v19, 0, v5, s2
	v_bfi_b32 v11, 0x7fffffff, v11, v13
	v_cndmask_b32_e32 v13, 0, v8, vcc_lo
	v_cmp_gt_f64_e32 vcc_lo, 0, v[6:7]
	s_or_b32 s2, s6, s8
	s_delay_alu instid0(VALU_DEP_3) | instskip(SKIP_1) | instid1(VALU_DEP_1)
	v_cndmask_b32_e64 v14, 0x7ff80000, v11, s9
	v_cndmask_b32_e64 v16, 0x7ff00000, 0, s4
	v_bfi_b32 v16, 0x7fffffff, v16, v17
	s_delay_alu instid0(VALU_DEP_3)
	v_dual_cndmask_b32 v10, v10, v15, s3 :: v_dual_cndmask_b32 v11, v11, v14, s3
	v_dual_cndmask_b32 v8, v8, v13 :: v_dual_cndmask_b32 v9, v9, v12
	v_bfi_b32 v12, 0x7fffffff, v18, v19
	s_or_b32 vcc_lo, s4, s7
	s_delay_alu instid0(VALU_DEP_2) | instid1(SALU_CYCLE_1)
	v_cndmask_b32_e64 v8, v8, 0, vcc_lo
	s_delay_alu instid0(VALU_DEP_3)
	v_cndmask_b32_e32 v9, v9, v16, vcc_lo
	v_cmp_o_f64_e32 vcc_lo, v[6:7], v[6:7]
	v_cndmask_b32_e64 v7, v11, v12, s2
	v_cndmask_b32_e64 v6, v10, 0, s2
	v_cmp_o_f64_e64 s2, v[4:5], v[4:5]
	v_cndmask_b32_e32 v4, 0, v8, vcc_lo
	v_cndmask_b32_e32 v5, 0x7ff80000, v9, vcc_lo
	s_delay_alu instid0(VALU_DEP_3) | instskip(SKIP_1) | instid1(VALU_DEP_1)
	v_cndmask_b32_e64 v6, 0, v6, s2
	v_cndmask_b32_e64 v7, 0x7ff80000, v7, s2
	v_add_f64_e32 v[4:5], v[6:7], v[4:5]
	s_delay_alu instid0(VALU_DEP_1)
	v_cmp_nlt_f64_e32 vcc_lo, 1.0, v[4:5]
	s_and_b32 exec_lo, exec_lo, vcc_lo
	s_cbranch_execz .LBB0_22
; %bb.2:
	s_mov_b32 s3, exec_lo
	s_mov_b32 s2, exec_lo
	v_mbcnt_lo_u32_b32 v6, s3, 0
	s_delay_alu instid0(VALU_DEP_1)
	v_cmpx_eq_u32_e32 0, v6
	s_cbranch_execz .LBB0_4
; %bb.3:
	s_load_b64 s[4:5], s[0:1], 0x30
	s_bcnt1_i32_b32 s3, s3
	s_delay_alu instid0(SALU_CYCLE_1)
	v_dual_mov_b32 v6, 0 :: v_dual_mov_b32 v7, s3
	s_wait_xcnt 0x0
	s_wait_kmcnt 0x0
	global_atomic_add_u32 v6, v7, s[4:5] scope:SCOPE_DEV
.LBB0_4:
	s_wait_xcnt 0x0
	s_or_b32 exec_lo, exec_lo, s2
	s_load_b64 s[2:3], s[0:1], 0x38
	s_cmp_lt_i32 s11, 1
	s_cbranch_scc1 .LBB0_17
; %bb.5:
	v_div_scale_f64 v[6:7], null, s[12:13], s[12:13], 1.0
	v_div_scale_f64 v[12:13], vcc_lo, 1.0, s[12:13], 1.0
	s_mov_b64 s[4:5], 0x3e000000001c5f68
	s_mov_b64 s[6:7], 0x3fe5555555555555
	;; [unrolled: 1-line block ×3, first 2 shown]
	s_xor_b32 s21, s19, 0x80000000
	s_mov_b32 s20, s18
	v_mov_b32_e32 v42, s10
	s_mov_b32 s10, 0
	v_rcp_f64_e32 v[8:9], v[6:7]
	v_nop
	s_delay_alu instid0(TRANS32_DEP_1) | instskip(NEXT) | instid1(VALU_DEP_1)
	v_fma_f64 v[10:11], -v[6:7], v[8:9], 1.0
	v_fmac_f64_e32 v[8:9], v[8:9], v[10:11]
	s_delay_alu instid0(VALU_DEP_1) | instskip(NEXT) | instid1(VALU_DEP_1)
	v_fma_f64 v[10:11], -v[6:7], v[8:9], 1.0
	v_fmac_f64_e32 v[8:9], v[8:9], v[10:11]
	s_delay_alu instid0(VALU_DEP_1) | instskip(NEXT) | instid1(VALU_DEP_1)
	v_mul_f64_e32 v[10:11], v[12:13], v[8:9]
	v_fma_f64 v[6:7], -v[6:7], v[10:11], v[12:13]
	s_delay_alu instid0(VALU_DEP_1) | instskip(SKIP_1) | instid1(VALU_DEP_2)
	v_div_fmas_f64 v[6:7], v[6:7], v[8:9], v[10:11]
	v_div_scale_f64 v[10:11], null, s[14:15], s[14:15], 1.0
	v_div_fixup_f64 v[6:7], v[6:7], s[12:13], 1.0
	s_delay_alu instid0(VALU_DEP_2) | instskip(NEXT) | instid1(VALU_DEP_1)
	v_rcp_f64_e32 v[14:15], v[10:11]
	v_div_scale_f64 v[8:9], null, s[12:13], s[12:13], v[6:7]
	v_div_scale_f64 v[20:21], vcc_lo, v[6:7], s[12:13], v[6:7]
	s_delay_alu instid0(TRANS32_DEP_1) | instskip(NEXT) | instid1(VALU_DEP_3)
	v_fma_f64 v[18:19], -v[10:11], v[14:15], 1.0
	v_rcp_f64_e32 v[12:13], v[8:9]
	s_delay_alu instid0(VALU_DEP_1) | instskip(NEXT) | instid1(TRANS32_DEP_1)
	v_fmac_f64_e32 v[14:15], v[14:15], v[18:19]
	v_fma_f64 v[16:17], -v[8:9], v[12:13], 1.0
	s_delay_alu instid0(VALU_DEP_2) | instskip(NEXT) | instid1(VALU_DEP_2)
	v_fma_f64 v[18:19], -v[10:11], v[14:15], 1.0
	v_fmac_f64_e32 v[12:13], v[12:13], v[16:17]
	s_delay_alu instid0(VALU_DEP_2) | instskip(NEXT) | instid1(VALU_DEP_2)
	v_fmac_f64_e32 v[14:15], v[14:15], v[18:19]
	v_fma_f64 v[16:17], -v[8:9], v[12:13], 1.0
	s_delay_alu instid0(VALU_DEP_1) | instskip(SKIP_2) | instid1(VALU_DEP_2)
	v_fmac_f64_e32 v[12:13], v[12:13], v[16:17]
	s_wait_xcnt 0x0
	v_div_scale_f64 v[16:17], s0, 1.0, s[14:15], 1.0
	v_mul_f64_e32 v[18:19], v[20:21], v[12:13]
	s_delay_alu instid0(VALU_DEP_2) | instskip(NEXT) | instid1(VALU_DEP_2)
	v_mul_f64_e32 v[22:23], v[16:17], v[14:15]
	v_fma_f64 v[8:9], -v[8:9], v[18:19], v[20:21]
	s_delay_alu instid0(VALU_DEP_2) | instskip(NEXT) | instid1(VALU_DEP_2)
	v_fma_f64 v[10:11], -v[10:11], v[22:23], v[16:17]
                                        ; implicit-def: $vgpr20_vgpr21
                                        ; implicit-def: $vgpr20_vgpr21
	;; [unrolled: 1-line block ×15, first 2 shown]
	v_div_fmas_f64 v[8:9], v[8:9], v[12:13], v[18:19]
	s_mov_b32 vcc_lo, s0
	s_delay_alu instid0(VALU_DEP_2) | instskip(NEXT) | instid1(VALU_DEP_2)
	v_div_fmas_f64 v[10:11], v[10:11], v[14:15], v[22:23]
	v_div_fixup_f64 v[8:9], v[8:9], s[12:13], v[6:7]
	v_mov_b64_e32 v[6:7], 0
	s_delay_alu instid0(VALU_DEP_3) | instskip(NEXT) | instid1(VALU_DEP_1)
	v_div_fixup_f64 v[10:11], v[10:11], s[14:15], 1.0
	v_div_scale_f64 v[12:13], null, s[14:15], s[14:15], v[10:11]
	v_div_scale_f64 v[18:19], vcc_lo, v[10:11], s[14:15], v[10:11]
	s_delay_alu instid0(VALU_DEP_2) | instskip(SKIP_1) | instid1(TRANS32_DEP_1)
	v_rcp_f64_e32 v[14:15], v[12:13]
	v_nop
	v_fma_f64 v[16:17], -v[12:13], v[14:15], 1.0
	s_delay_alu instid0(VALU_DEP_1) | instskip(NEXT) | instid1(VALU_DEP_1)
	v_fmac_f64_e32 v[14:15], v[14:15], v[16:17]
	v_fma_f64 v[16:17], -v[12:13], v[14:15], 1.0
	s_delay_alu instid0(VALU_DEP_1) | instskip(NEXT) | instid1(VALU_DEP_1)
	v_fmac_f64_e32 v[14:15], v[14:15], v[16:17]
	v_mul_f64_e32 v[16:17], v[18:19], v[14:15]
	s_delay_alu instid0(VALU_DEP_1) | instskip(NEXT) | instid1(VALU_DEP_1)
	v_dual_fma_f64 v[12:13], -v[12:13], v[16:17], v[18:19] :: v_dual_mov_b32 v18, 0
	v_div_fmas_f64 v[12:13], v[12:13], v[14:15], v[16:17]
	v_mov_b64_e32 v[14:15], 0x3fba6564968915a9
	v_mov_b64_e32 v[16:17], 0x3e928af3fca7ab0c
	s_delay_alu instid0(VALU_DEP_3)
	v_div_fixup_f64 v[10:11], v[12:13], s[14:15], v[10:11]
	v_mul_f64_e64 v[12:13], s[16:17], 0.5
	s_branch .LBB0_7
.LBB0_6:                                ;   in Loop: Header=BB0_7 Depth=1
	s_or_b32 exec_lo, exec_lo, s22
	v_add_f64_e32 v[6:7], v[6:7], v[20:21]
	s_add_co_i32 s10, s10, 1
	s_delay_alu instid0(SALU_CYCLE_1)
	s_cmp_eq_u32 s10, s11
	s_cbranch_scc1 .LBB0_18
.LBB0_7:                                ; =>This Loop Header: Depth=1
                                        ;     Child Loop BB0_10 Depth 2
	v_mov_b64_e32 v[20:21], 1.0
	v_mov_b64_e32 v[22:23], v[2:3]
	v_mov_b64_e32 v[24:25], v[0:1]
	s_mov_b32 s22, 0
	s_branch .LBB0_10
.LBB0_8:                                ;   in Loop: Header=BB0_10 Depth=2
	s_or_b32 exec_lo, exec_lo, s1
.LBB0_9:                                ;   in Loop: Header=BB0_10 Depth=2
	s_delay_alu instid0(SALU_CYCLE_1) | instskip(SKIP_1) | instid1(VALU_DEP_1)
	s_or_b32 exec_lo, exec_lo, s0
	v_div_scale_f64 v[30:31], null, s[12:13], s[12:13], v[24:25]
	v_rcp_f64_e32 v[32:33], v[30:31]
	v_nop
	s_delay_alu instid0(TRANS32_DEP_1) | instskip(NEXT) | instid1(VALU_DEP_1)
	v_fma_f64 v[34:35], -v[30:31], v[32:33], 1.0
	v_fmac_f64_e32 v[32:33], v[32:33], v[34:35]
	s_delay_alu instid0(VALU_DEP_1) | instskip(NEXT) | instid1(VALU_DEP_1)
	v_fma_f64 v[34:35], -v[30:31], v[32:33], 1.0
	v_fmac_f64_e32 v[32:33], v[32:33], v[34:35]
	v_div_scale_f64 v[34:35], vcc_lo, v[24:25], s[12:13], v[24:25]
	s_delay_alu instid0(VALU_DEP_1) | instskip(NEXT) | instid1(VALU_DEP_1)
	v_mul_f64_e32 v[36:37], v[34:35], v[32:33]
	v_fma_f64 v[30:31], -v[30:31], v[36:37], v[34:35]
	s_delay_alu instid0(VALU_DEP_1) | instskip(NEXT) | instid1(VALU_DEP_1)
	v_div_fmas_f64 v[30:31], v[30:31], v[32:33], v[36:37]
	v_div_fixup_f64 v[30:31], v[30:31], s[12:13], v[24:25]
	v_add_f64_e32 v[24:25], v[24:25], v[28:29]
	s_delay_alu instid0(VALU_DEP_2) | instskip(NEXT) | instid1(VALU_DEP_1)
	v_div_scale_f64 v[32:33], null, s[12:13], s[12:13], v[30:31]
	v_rcp_f64_e32 v[34:35], v[32:33]
	v_nop
	s_delay_alu instid0(TRANS32_DEP_1) | instskip(NEXT) | instid1(VALU_DEP_1)
	v_fma_f64 v[36:37], -v[32:33], v[34:35], 1.0
	v_fmac_f64_e32 v[34:35], v[34:35], v[36:37]
	s_delay_alu instid0(VALU_DEP_1) | instskip(NEXT) | instid1(VALU_DEP_1)
	v_fma_f64 v[36:37], -v[32:33], v[34:35], 1.0
	v_fmac_f64_e32 v[34:35], v[34:35], v[36:37]
	v_div_scale_f64 v[36:37], vcc_lo, v[30:31], s[12:13], v[30:31]
	s_delay_alu instid0(VALU_DEP_1) | instskip(NEXT) | instid1(VALU_DEP_1)
	v_mul_f64_e32 v[38:39], v[36:37], v[34:35]
	v_fma_f64 v[32:33], -v[32:33], v[38:39], v[36:37]
	s_delay_alu instid0(VALU_DEP_1) | instskip(NEXT) | instid1(VALU_DEP_1)
	v_div_fmas_f64 v[32:33], v[32:33], v[34:35], v[38:39]
	v_div_fixup_f64 v[30:31], v[32:33], s[12:13], v[30:31]
	s_delay_alu instid0(VALU_DEP_1) | instskip(SKIP_4) | instid1(VALU_DEP_4)
	v_cmp_eq_f64_e32 vcc_lo, 1.0, v[30:31]
	v_frexp_mant_f64_e64 v[32:33], |v[30:31]|
	v_frexp_exp_i32_f64_e32 v34, v[30:31]
	v_cmp_gt_f64_e64 s1, 0, v[30:31]
	v_cndmask_b32_e64 v19, 2.0, 0x3ff00000, vcc_lo
	v_cmp_gt_f64_e32 vcc_lo, s[6:7], v[32:33]
	v_cndmask_b32_e64 v35, 0, 1, vcc_lo
	v_subrev_co_ci_u32_e64 v43, null, 0, v34, vcc_lo
	s_delay_alu instid0(VALU_DEP_2) | instskip(NEXT) | instid1(VALU_DEP_1)
	v_ldexp_f64 v[32:33], v[32:33], v35
	v_add_f64_e32 v[36:37], 1.0, v[32:33]
	v_add_f64_e32 v[34:35], -1.0, v[32:33]
	s_delay_alu instid0(VALU_DEP_2) | instskip(NEXT) | instid1(VALU_DEP_1)
	v_add_f64_e32 v[38:39], -1.0, v[36:37]
	v_add_f64_e64 v[32:33], v[32:33], -v[38:39]
	v_rcp_f64_e32 v[38:39], v[36:37]
	v_nop
	s_delay_alu instid0(TRANS32_DEP_1) | instskip(NEXT) | instid1(VALU_DEP_1)
	v_fma_f64 v[40:41], -v[36:37], v[38:39], 1.0
	v_fmac_f64_e32 v[38:39], v[40:41], v[38:39]
	s_delay_alu instid0(VALU_DEP_1) | instskip(NEXT) | instid1(VALU_DEP_1)
	v_fma_f64 v[40:41], -v[36:37], v[38:39], 1.0
	v_fmac_f64_e32 v[38:39], v[40:41], v[38:39]
	s_delay_alu instid0(VALU_DEP_1) | instskip(NEXT) | instid1(VALU_DEP_1)
	v_mul_f64_e32 v[40:41], v[34:35], v[38:39]
	v_mul_f64_e32 v[44:45], v[36:37], v[40:41]
	s_delay_alu instid0(VALU_DEP_1) | instskip(NEXT) | instid1(VALU_DEP_1)
	v_fma_f64 v[36:37], v[40:41], v[36:37], -v[44:45]
	v_fmac_f64_e32 v[36:37], v[40:41], v[32:33]
	s_delay_alu instid0(VALU_DEP_1) | instskip(NEXT) | instid1(VALU_DEP_1)
	v_add_f64_e32 v[32:33], v[44:45], v[36:37]
	v_add_f64_e64 v[46:47], v[34:35], -v[32:33]
	v_add_f64_e64 v[44:45], v[32:33], -v[44:45]
	s_delay_alu instid0(VALU_DEP_2) | instskip(NEXT) | instid1(VALU_DEP_1)
	v_add_f64_e64 v[34:35], v[34:35], -v[46:47]
	v_add_f64_e64 v[32:33], v[34:35], -v[32:33]
	s_delay_alu instid0(VALU_DEP_3) | instskip(SKIP_1) | instid1(VALU_DEP_2)
	v_add_f64_e64 v[34:35], v[44:45], -v[36:37]
	v_cvt_f64_i32_e32 v[44:45], v43
	v_add_f64_e32 v[32:33], v[34:35], v[32:33]
	s_delay_alu instid0(VALU_DEP_1) | instskip(NEXT) | instid1(VALU_DEP_3)
	v_add_f64_e32 v[32:33], v[46:47], v[32:33]
	v_mul_f64_e32 v[46:47], 0x3fe62e42fefa39ef, v[44:45]
	s_delay_alu instid0(VALU_DEP_2) | instskip(NEXT) | instid1(VALU_DEP_2)
	v_mul_f64_e32 v[32:33], v[38:39], v[32:33]
	v_fma_f64 v[48:49], v[44:45], s[8:9], -v[46:47]
	s_delay_alu instid0(VALU_DEP_2) | instskip(NEXT) | instid1(VALU_DEP_2)
	v_add_f64_e32 v[34:35], v[40:41], v[32:33]
	v_fmac_f64_e32 v[48:49], 0x3c7abc9e3b39803f, v[44:45]
	s_delay_alu instid0(VALU_DEP_2) | instskip(NEXT) | instid1(VALU_DEP_2)
	v_add_f64_e64 v[36:37], v[34:35], -v[40:41]
	v_add_f64_e32 v[44:45], v[46:47], v[48:49]
	s_delay_alu instid0(VALU_DEP_2) | instskip(SKIP_1) | instid1(VALU_DEP_3)
	v_add_f64_e64 v[32:33], v[32:33], -v[36:37]
	v_mul_f64_e32 v[36:37], v[34:35], v[34:35]
	v_add_f64_e64 v[46:47], v[44:45], -v[46:47]
	s_delay_alu instid0(VALU_DEP_3) | instskip(NEXT) | instid1(VALU_DEP_3)
	v_add_f64_e32 v[40:41], v[32:33], v[32:33]
	v_fma_f64 v[38:39], v[34:35], v[34:35], -v[36:37]
	v_ldexp_f64 v[50:51], v[32:33], 1
	s_delay_alu instid0(VALU_DEP_4) | instskip(SKIP_1) | instid1(VALU_DEP_4)
	v_add_f64_e64 v[46:47], v[48:49], -v[46:47]
	v_ldexp_f64 v[48:49], v[34:35], 1
	v_fmac_f64_e32 v[38:39], v[34:35], v[40:41]
	s_delay_alu instid0(VALU_DEP_1) | instskip(NEXT) | instid1(VALU_DEP_1)
	v_add_f64_e32 v[40:41], v[36:37], v[38:39]
	v_mul_f64_e32 v[52:53], v[34:35], v[40:41]
	v_add_f64_e64 v[36:37], v[40:41], -v[36:37]
	s_delay_alu instid0(VALU_DEP_2) | instskip(NEXT) | instid1(VALU_DEP_2)
	v_fma_f64 v[54:55], v[40:41], v[34:35], -v[52:53]
	v_add_f64_e64 v[36:37], v[38:39], -v[36:37]
	v_fmamk_f64 v[38:39], v[40:41], 0x3fbdee674222de17, v[14:15]
	s_delay_alu instid0(VALU_DEP_1) | instskip(NEXT) | instid1(VALU_DEP_1)
	v_fmaak_f64 v[38:39], v[40:41], v[38:39], 0x3fbe25e43abe935a
	v_fmaak_f64 v[38:39], v[40:41], v[38:39], 0x3fc110ef47e6c9c2
	s_delay_alu instid0(VALU_DEP_1) | instskip(NEXT) | instid1(VALU_DEP_1)
	v_fmaak_f64 v[38:39], v[40:41], v[38:39], 0x3fc3b13bcfa74449
	v_fmaak_f64 v[38:39], v[40:41], v[38:39], 0x3fc745d171bf3c30
	v_fmac_f64_e32 v[54:55], v[40:41], v[32:33]
	s_delay_alu instid0(VALU_DEP_2) | instskip(NEXT) | instid1(VALU_DEP_1)
	v_fmaak_f64 v[38:39], v[40:41], v[38:39], 0x3fcc71c71c7792ce
	v_fmaak_f64 v[38:39], v[40:41], v[38:39], 0x3fd24924924920da
	s_delay_alu instid0(VALU_DEP_1) | instskip(NEXT) | instid1(VALU_DEP_4)
	v_fmaak_f64 v[38:39], v[40:41], v[38:39], 0x3fd999999999999c
	v_fmac_f64_e32 v[54:55], v[36:37], v[34:35]
	s_delay_alu instid0(VALU_DEP_1) | instskip(NEXT) | instid1(VALU_DEP_1)
	v_add_f64_e32 v[32:33], v[52:53], v[54:55]
	v_add_f64_e64 v[34:35], v[32:33], -v[52:53]
	s_delay_alu instid0(VALU_DEP_4) | instskip(NEXT) | instid1(VALU_DEP_2)
	v_mul_f64_e32 v[52:53], v[40:41], v[38:39]
	v_add_f64_e64 v[34:35], v[54:55], -v[34:35]
	s_delay_alu instid0(VALU_DEP_2) | instskip(NEXT) | instid1(VALU_DEP_1)
	v_fma_f64 v[40:41], v[40:41], v[38:39], -v[52:53]
	v_fmac_f64_e32 v[40:41], v[36:37], v[38:39]
	s_delay_alu instid0(VALU_DEP_1) | instskip(NEXT) | instid1(VALU_DEP_1)
	v_add_f64_e32 v[36:37], v[52:53], v[40:41]
	v_add_f64_e64 v[38:39], v[36:37], -v[52:53]
	s_delay_alu instid0(VALU_DEP_1) | instskip(SKIP_1) | instid1(VALU_DEP_2)
	v_add_f64_e64 v[38:39], v[40:41], -v[38:39]
	v_add_f64_e32 v[40:41], 0x3fe5555555555555, v[36:37]
	v_add_f64_e32 v[38:39], 0x3c8543b0d5df274d, v[38:39]
	s_delay_alu instid0(VALU_DEP_2) | instskip(NEXT) | instid1(VALU_DEP_1)
	v_add_f64_e32 v[52:53], 0xbfe5555555555555, v[40:41]
	v_add_f64_e64 v[36:37], v[36:37], -v[52:53]
	s_delay_alu instid0(VALU_DEP_1) | instskip(NEXT) | instid1(VALU_DEP_1)
	v_add_f64_e32 v[36:37], v[38:39], v[36:37]
	v_add_f64_e32 v[38:39], v[40:41], v[36:37]
	s_delay_alu instid0(VALU_DEP_1) | instskip(NEXT) | instid1(VALU_DEP_1)
	v_add_f64_e64 v[40:41], v[40:41], -v[38:39]
	v_add_f64_e32 v[36:37], v[36:37], v[40:41]
	v_mul_f64_e32 v[40:41], v[32:33], v[38:39]
	s_delay_alu instid0(VALU_DEP_1) | instskip(NEXT) | instid1(VALU_DEP_1)
	v_fma_f64 v[52:53], v[32:33], v[38:39], -v[40:41]
	v_fmac_f64_e32 v[52:53], v[32:33], v[36:37]
	s_delay_alu instid0(VALU_DEP_1) | instskip(NEXT) | instid1(VALU_DEP_1)
	v_fmac_f64_e32 v[52:53], v[34:35], v[38:39]
	v_add_f64_e32 v[32:33], v[40:41], v[52:53]
	s_delay_alu instid0(VALU_DEP_1) | instskip(SKIP_1) | instid1(VALU_DEP_2)
	v_add_f64_e64 v[34:35], v[32:33], -v[40:41]
	v_add_f64_e32 v[36:37], v[48:49], v[32:33]
	v_add_f64_e64 v[34:35], v[52:53], -v[34:35]
	s_delay_alu instid0(VALU_DEP_2) | instskip(NEXT) | instid1(VALU_DEP_2)
	v_add_f64_e64 v[38:39], v[36:37], -v[48:49]
	v_add_f64_e32 v[34:35], v[50:51], v[34:35]
	s_delay_alu instid0(VALU_DEP_2) | instskip(NEXT) | instid1(VALU_DEP_1)
	v_add_f64_e64 v[32:33], v[32:33], -v[38:39]
	v_add_f64_e32 v[32:33], v[34:35], v[32:33]
	s_delay_alu instid0(VALU_DEP_1) | instskip(NEXT) | instid1(VALU_DEP_1)
	v_add_f64_e32 v[34:35], v[36:37], v[32:33]
	v_add_f64_e64 v[36:37], v[34:35], -v[36:37]
	s_delay_alu instid0(VALU_DEP_1) | instskip(SKIP_1) | instid1(VALU_DEP_1)
	v_add_f64_e64 v[32:33], v[32:33], -v[36:37]
	v_add_f64_e32 v[36:37], v[44:45], v[34:35]
	v_add_f64_e64 v[38:39], v[36:37], -v[44:45]
	s_delay_alu instid0(VALU_DEP_1) | instskip(SKIP_2) | instid1(VALU_DEP_3)
	v_add_f64_e64 v[40:41], v[36:37], -v[38:39]
	v_add_f64_e64 v[34:35], v[34:35], -v[38:39]
	v_add_f64_e32 v[38:39], v[46:47], v[32:33]
	v_add_f64_e64 v[40:41], v[44:45], -v[40:41]
	s_delay_alu instid0(VALU_DEP_1) | instskip(NEXT) | instid1(VALU_DEP_3)
	v_add_f64_e32 v[34:35], v[34:35], v[40:41]
	v_add_f64_e64 v[40:41], v[38:39], -v[46:47]
	s_delay_alu instid0(VALU_DEP_2) | instskip(NEXT) | instid1(VALU_DEP_2)
	v_add_f64_e32 v[34:35], v[38:39], v[34:35]
	v_add_f64_e64 v[44:45], v[38:39], -v[40:41]
	v_add_f64_e64 v[32:33], v[32:33], -v[40:41]
	s_delay_alu instid0(VALU_DEP_3) | instskip(NEXT) | instid1(VALU_DEP_3)
	v_add_f64_e32 v[38:39], v[36:37], v[34:35]
	v_add_f64_e64 v[44:45], v[46:47], -v[44:45]
	s_delay_alu instid0(VALU_DEP_2) | instskip(NEXT) | instid1(VALU_DEP_2)
	v_add_f64_e64 v[36:37], v[38:39], -v[36:37]
	v_add_f64_e32 v[32:33], v[32:33], v[44:45]
	s_delay_alu instid0(VALU_DEP_2) | instskip(NEXT) | instid1(VALU_DEP_1)
	v_add_f64_e64 v[34:35], v[34:35], -v[36:37]
	v_add_f64_e32 v[32:33], v[32:33], v[34:35]
	s_delay_alu instid0(VALU_DEP_1) | instskip(NEXT) | instid1(VALU_DEP_1)
	v_add_f64_e32 v[34:35], v[38:39], v[32:33]
	v_add_f64_e64 v[36:37], v[34:35], -v[38:39]
	s_delay_alu instid0(VALU_DEP_1) | instskip(SKIP_1) | instid1(VALU_DEP_1)
	v_add_f64_e64 v[32:33], v[32:33], -v[36:37]
	v_mul_f64_e32 v[36:37], v[18:19], v[34:35]
	v_fma_f64 v[34:35], v[18:19], v[34:35], -v[36:37]
	v_cmp_class_f64_e64 vcc_lo, v[36:37], 0x204
	s_delay_alu instid0(VALU_DEP_2) | instskip(NEXT) | instid1(VALU_DEP_1)
	v_fmac_f64_e32 v[34:35], v[18:19], v[32:33]
	v_add_f64_e32 v[32:33], v[36:37], v[34:35]
	s_delay_alu instid0(VALU_DEP_1) | instskip(SKIP_1) | instid1(VALU_DEP_1)
	v_add_f64_e64 v[38:39], v[32:33], -v[36:37]
	v_dual_cndmask_b32 v33, v33, v37 :: v_dual_cndmask_b32 v32, v32, v36
	v_mul_f64_e32 v[36:37], 0x3ff71547652b82fe, v[32:33]
	v_cmp_neq_f64_e64 vcc_lo, 0x7ff00000, |v[32:33]|
	v_cmp_ngt_f64_e64 s0, 0xc090cc00, v[32:33]
	v_add_f64_e64 v[34:35], v[34:35], -v[38:39]
	s_delay_alu instid0(VALU_DEP_4) | instskip(NEXT) | instid1(VALU_DEP_2)
	v_rndne_f64_e32 v[36:37], v[36:37]
	v_dual_cndmask_b32 v35, 0, v35 :: v_dual_cndmask_b32 v34, 0, v34
	v_cmp_nlt_f64_e32 vcc_lo, 0x40900000, v[32:33]
	s_delay_alu instid0(VALU_DEP_3) | instskip(NEXT) | instid1(VALU_DEP_1)
	v_fmamk_f64 v[38:39], v[36:37], 0xbfe62e42fefa39ef, v[32:33]
	v_fmac_f64_e32 v[38:39], 0xbc7abc9e3b39803f, v[36:37]
	v_cvt_i32_f64_e32 v36, v[36:37]
	s_delay_alu instid0(VALU_DEP_2) | instskip(NEXT) | instid1(VALU_DEP_1)
	v_fmamk_f64 v[40:41], v[38:39], 0x3e5ade156a5dcb37, v[16:17]
	v_fmaak_f64 v[40:41], v[38:39], v[40:41], 0x3ec71dee623fde64
	s_delay_alu instid0(VALU_DEP_1) | instskip(NEXT) | instid1(VALU_DEP_1)
	v_fmaak_f64 v[40:41], v[38:39], v[40:41], 0x3efa01997c89e6b0
	v_fmaak_f64 v[40:41], v[38:39], v[40:41], 0x3f2a01a014761f6e
	s_delay_alu instid0(VALU_DEP_1) | instskip(NEXT) | instid1(VALU_DEP_1)
	v_fmaak_f64 v[40:41], v[38:39], v[40:41], 0x3f56c16c1852b7b0
	;; [unrolled: 3-line block ×4, first 2 shown]
	v_fma_f64 v[40:41], v[38:39], v[40:41], 1.0
	s_delay_alu instid0(VALU_DEP_1) | instskip(NEXT) | instid1(VALU_DEP_1)
	v_fma_f64 v[38:39], v[38:39], v[40:41], 1.0
	v_ldexp_f64 v[36:37], v[38:39], v36
	s_delay_alu instid0(VALU_DEP_1)
	v_cndmask_b32_e32 v37, 0x7ff00000, v37, vcc_lo
	s_and_b32 vcc_lo, s0, vcc_lo
	s_delay_alu instid0(VALU_DEP_1) | instid1(SALU_CYCLE_1)
	v_dual_cndmask_b32 v32, 0, v36, vcc_lo :: v_dual_cndmask_b32 v33, 0, v37, s0
	s_delay_alu instid0(VALU_DEP_1) | instskip(SKIP_1) | instid1(VALU_DEP_2)
	v_fma_f64 v[34:35], v[32:33], v[34:35], v[32:33]
	v_cmp_class_f64_e64 vcc_lo, v[32:33], 0x204
	v_dual_cndmask_b32 v36, v34, v32 :: v_dual_cndmask_b32 v37, v35, v33
	v_trunc_f64_e32 v[32:33], v[18:19]
	s_delay_alu instid0(VALU_DEP_1) | instskip(SKIP_1) | instid1(VALU_DEP_1)
	v_cmp_eq_f64_e32 vcc_lo, v[32:33], v[18:19]
	v_mul_f64_e32 v[32:33], 0.5, v[18:19]
	v_trunc_f64_e32 v[34:35], v[32:33]
	s_delay_alu instid0(VALU_DEP_1) | instskip(SKIP_1) | instid1(VALU_DEP_1)
	v_cmp_neq_f64_e64 s0, v[34:35], v[32:33]
	v_cndmask_b32_e32 v33, 0, v36, vcc_lo
	v_cndmask_b32_e64 v33, v36, v33, s1
	s_and_b32 s0, vcc_lo, s0
	s_delay_alu instid0(SALU_CYCLE_1) | instskip(SKIP_1) | instid1(VALU_DEP_2)
	v_cndmask_b32_e64 v19, 0x3ff00000, v31, s0
	v_cndmask_b32_e64 v34, 0, v31, s0
	v_bfi_b32 v19, 0x7fffffff, v37, v19
	s_delay_alu instid0(VALU_DEP_1) | instskip(SKIP_1) | instid1(VALU_DEP_2)
	v_cndmask_b32_e32 v32, 0x7ff80000, v19, vcc_lo
	v_cmp_eq_f64_e32 vcc_lo, 0, v[30:31]
	v_cndmask_b32_e64 v19, v19, v32, s1
	v_cmp_class_f64_e64 s1, v[30:31], 0x204
	v_cndmask_b32_e64 v32, 0x7ff00000, 0, vcc_lo
	s_or_b32 s1, vcc_lo, s1
	v_cmp_o_f64_e32 vcc_lo, v[30:31], v[30:31]
	s_delay_alu instid0(VALU_DEP_2) | instskip(NEXT) | instid1(VALU_DEP_1)
	v_bfi_b32 v32, 0x7fffffff, v32, v34
	v_cndmask_b32_e64 v19, v19, v32, s1
	v_cndmask_b32_e64 v32, v33, 0, s1
	s_delay_alu instid0(VALU_DEP_1) | instskip(SKIP_1) | instid1(VALU_DEP_4)
	v_cndmask_b32_e32 v30, 0, v32, vcc_lo
	v_div_scale_f64 v[32:33], null, s[14:15], s[14:15], v[22:23]
	v_cndmask_b32_e32 v31, 0x7ff80000, v19, vcc_lo
	s_delay_alu instid0(VALU_DEP_2) | instskip(SKIP_1) | instid1(TRANS32_DEP_1)
	v_rcp_f64_e32 v[34:35], v[32:33]
	v_nop
	v_fma_f64 v[36:37], -v[32:33], v[34:35], 1.0
	s_delay_alu instid0(VALU_DEP_1) | instskip(NEXT) | instid1(VALU_DEP_1)
	v_fmac_f64_e32 v[34:35], v[34:35], v[36:37]
	v_fma_f64 v[36:37], -v[32:33], v[34:35], 1.0
	s_delay_alu instid0(VALU_DEP_1) | instskip(SKIP_1) | instid1(VALU_DEP_1)
	v_fmac_f64_e32 v[34:35], v[34:35], v[36:37]
	v_div_scale_f64 v[36:37], vcc_lo, v[22:23], s[14:15], v[22:23]
	v_mul_f64_e32 v[38:39], v[36:37], v[34:35]
	s_delay_alu instid0(VALU_DEP_1) | instskip(NEXT) | instid1(VALU_DEP_1)
	v_fma_f64 v[32:33], -v[32:33], v[38:39], v[36:37]
	v_div_fmas_f64 v[32:33], v[32:33], v[34:35], v[38:39]
	s_delay_alu instid0(VALU_DEP_1) | instskip(SKIP_2) | instid1(VALU_DEP_3)
	v_div_fixup_f64 v[32:33], v[32:33], s[14:15], v[22:23]
	v_add_f64_e32 v[22:23], v[22:23], v[26:27]
	v_div_scale_f64 v[26:27], null, s[12:13], s[12:13], v[24:25]
	v_div_scale_f64 v[34:35], null, s[14:15], s[14:15], v[32:33]
	s_delay_alu instid0(VALU_DEP_2) | instskip(NEXT) | instid1(VALU_DEP_1)
	v_rcp_f64_e32 v[28:29], v[26:27]
	v_rcp_f64_e32 v[36:37], v[34:35]
	v_nop
	s_delay_alu instid0(TRANS32_DEP_1) | instskip(NEXT) | instid1(VALU_DEP_1)
	v_fma_f64 v[38:39], -v[34:35], v[36:37], 1.0
	v_fmac_f64_e32 v[36:37], v[36:37], v[38:39]
	s_delay_alu instid0(VALU_DEP_1) | instskip(NEXT) | instid1(VALU_DEP_1)
	v_fma_f64 v[38:39], -v[34:35], v[36:37], 1.0
	v_fmac_f64_e32 v[36:37], v[36:37], v[38:39]
	v_div_scale_f64 v[38:39], vcc_lo, v[32:33], s[14:15], v[32:33]
	s_delay_alu instid0(VALU_DEP_1) | instskip(NEXT) | instid1(VALU_DEP_1)
	v_mul_f64_e32 v[40:41], v[38:39], v[36:37]
	v_fma_f64 v[34:35], -v[34:35], v[40:41], v[38:39]
	s_delay_alu instid0(VALU_DEP_1) | instskip(NEXT) | instid1(VALU_DEP_1)
	v_div_fmas_f64 v[34:35], v[34:35], v[36:37], v[40:41]
	v_div_fixup_f64 v[32:33], v[34:35], s[14:15], v[32:33]
	s_delay_alu instid0(VALU_DEP_1) | instskip(SKIP_4) | instid1(VALU_DEP_4)
	v_cmp_eq_f64_e32 vcc_lo, 1.0, v[32:33]
	v_frexp_mant_f64_e64 v[34:35], |v[32:33]|
	v_frexp_exp_i32_f64_e32 v36, v[32:33]
	v_cmp_gt_f64_e64 s1, 0, v[32:33]
	v_cndmask_b32_e64 v19, 2.0, 0x3ff00000, vcc_lo
	v_cmp_gt_f64_e32 vcc_lo, s[6:7], v[34:35]
	v_cndmask_b32_e64 v37, 0, 1, vcc_lo
	v_subrev_co_ci_u32_e64 v43, null, 0, v36, vcc_lo
	s_delay_alu instid0(VALU_DEP_2) | instskip(NEXT) | instid1(VALU_DEP_1)
	v_ldexp_f64 v[34:35], v[34:35], v37
	v_add_f64_e32 v[38:39], 1.0, v[34:35]
	v_add_f64_e32 v[36:37], -1.0, v[34:35]
	s_delay_alu instid0(VALU_DEP_2) | instskip(NEXT) | instid1(VALU_DEP_1)
	v_add_f64_e32 v[40:41], -1.0, v[38:39]
	v_add_f64_e64 v[34:35], v[34:35], -v[40:41]
	v_rcp_f64_e32 v[40:41], v[38:39]
	v_nop
	s_delay_alu instid0(TRANS32_DEP_1) | instskip(NEXT) | instid1(VALU_DEP_1)
	v_fma_f64 v[44:45], -v[38:39], v[40:41], 1.0
	v_fmac_f64_e32 v[40:41], v[44:45], v[40:41]
	s_delay_alu instid0(VALU_DEP_1) | instskip(NEXT) | instid1(VALU_DEP_1)
	v_fma_f64 v[44:45], -v[38:39], v[40:41], 1.0
	v_fmac_f64_e32 v[40:41], v[44:45], v[40:41]
	s_delay_alu instid0(VALU_DEP_1) | instskip(NEXT) | instid1(VALU_DEP_1)
	v_mul_f64_e32 v[44:45], v[36:37], v[40:41]
	v_mul_f64_e32 v[46:47], v[38:39], v[44:45]
	s_delay_alu instid0(VALU_DEP_1) | instskip(NEXT) | instid1(VALU_DEP_1)
	v_fma_f64 v[38:39], v[44:45], v[38:39], -v[46:47]
	v_fmac_f64_e32 v[38:39], v[44:45], v[34:35]
	s_delay_alu instid0(VALU_DEP_1) | instskip(NEXT) | instid1(VALU_DEP_1)
	v_add_f64_e32 v[34:35], v[46:47], v[38:39]
	v_add_f64_e64 v[48:49], v[36:37], -v[34:35]
	v_add_f64_e64 v[46:47], v[34:35], -v[46:47]
	s_delay_alu instid0(VALU_DEP_2) | instskip(NEXT) | instid1(VALU_DEP_1)
	v_add_f64_e64 v[36:37], v[36:37], -v[48:49]
	v_add_f64_e64 v[34:35], v[36:37], -v[34:35]
	s_delay_alu instid0(VALU_DEP_3) | instskip(SKIP_1) | instid1(VALU_DEP_2)
	v_add_f64_e64 v[36:37], v[46:47], -v[38:39]
	v_cvt_f64_i32_e32 v[46:47], v43
	v_add_f64_e32 v[34:35], v[36:37], v[34:35]
	s_delay_alu instid0(VALU_DEP_1) | instskip(NEXT) | instid1(VALU_DEP_3)
	v_add_f64_e32 v[34:35], v[48:49], v[34:35]
	v_mul_f64_e32 v[48:49], 0x3fe62e42fefa39ef, v[46:47]
	s_delay_alu instid0(VALU_DEP_2) | instskip(NEXT) | instid1(VALU_DEP_2)
	v_mul_f64_e32 v[34:35], v[40:41], v[34:35]
	v_fma_f64 v[50:51], v[46:47], s[8:9], -v[48:49]
	s_delay_alu instid0(VALU_DEP_2) | instskip(NEXT) | instid1(VALU_DEP_2)
	v_add_f64_e32 v[36:37], v[44:45], v[34:35]
	v_fmac_f64_e32 v[50:51], 0x3c7abc9e3b39803f, v[46:47]
	s_delay_alu instid0(VALU_DEP_2) | instskip(NEXT) | instid1(VALU_DEP_2)
	v_add_f64_e64 v[38:39], v[36:37], -v[44:45]
	v_add_f64_e32 v[46:47], v[48:49], v[50:51]
	s_delay_alu instid0(VALU_DEP_2) | instskip(SKIP_1) | instid1(VALU_DEP_3)
	v_add_f64_e64 v[34:35], v[34:35], -v[38:39]
	v_mul_f64_e32 v[38:39], v[36:37], v[36:37]
	v_add_f64_e64 v[48:49], v[46:47], -v[48:49]
	s_delay_alu instid0(VALU_DEP_3) | instskip(NEXT) | instid1(VALU_DEP_3)
	v_add_f64_e32 v[44:45], v[34:35], v[34:35]
	v_fma_f64 v[40:41], v[36:37], v[36:37], -v[38:39]
	v_ldexp_f64 v[52:53], v[34:35], 1
	s_delay_alu instid0(VALU_DEP_4) | instskip(SKIP_1) | instid1(VALU_DEP_4)
	v_add_f64_e64 v[48:49], v[50:51], -v[48:49]
	v_ldexp_f64 v[50:51], v[36:37], 1
	v_fmac_f64_e32 v[40:41], v[36:37], v[44:45]
	s_delay_alu instid0(VALU_DEP_1) | instskip(NEXT) | instid1(VALU_DEP_1)
	v_add_f64_e32 v[44:45], v[38:39], v[40:41]
	v_mul_f64_e32 v[54:55], v[36:37], v[44:45]
	v_add_f64_e64 v[38:39], v[44:45], -v[38:39]
	s_delay_alu instid0(VALU_DEP_2) | instskip(NEXT) | instid1(VALU_DEP_2)
	v_fma_f64 v[56:57], v[44:45], v[36:37], -v[54:55]
	v_add_f64_e64 v[38:39], v[40:41], -v[38:39]
	v_fmamk_f64 v[40:41], v[44:45], 0x3fbdee674222de17, v[14:15]
	s_delay_alu instid0(VALU_DEP_1) | instskip(NEXT) | instid1(VALU_DEP_1)
	v_fmaak_f64 v[40:41], v[44:45], v[40:41], 0x3fbe25e43abe935a
	v_fmaak_f64 v[40:41], v[44:45], v[40:41], 0x3fc110ef47e6c9c2
	s_delay_alu instid0(VALU_DEP_1) | instskip(NEXT) | instid1(VALU_DEP_1)
	v_fmaak_f64 v[40:41], v[44:45], v[40:41], 0x3fc3b13bcfa74449
	v_fmaak_f64 v[40:41], v[44:45], v[40:41], 0x3fc745d171bf3c30
	v_fmac_f64_e32 v[56:57], v[44:45], v[34:35]
	s_delay_alu instid0(VALU_DEP_2) | instskip(NEXT) | instid1(VALU_DEP_1)
	v_fmaak_f64 v[40:41], v[44:45], v[40:41], 0x3fcc71c71c7792ce
	v_fmaak_f64 v[40:41], v[44:45], v[40:41], 0x3fd24924924920da
	s_delay_alu instid0(VALU_DEP_1) | instskip(NEXT) | instid1(VALU_DEP_4)
	v_fmaak_f64 v[40:41], v[44:45], v[40:41], 0x3fd999999999999c
	v_fmac_f64_e32 v[56:57], v[38:39], v[36:37]
	s_delay_alu instid0(VALU_DEP_1) | instskip(NEXT) | instid1(VALU_DEP_1)
	v_add_f64_e32 v[34:35], v[54:55], v[56:57]
	v_add_f64_e64 v[36:37], v[34:35], -v[54:55]
	s_delay_alu instid0(VALU_DEP_4) | instskip(NEXT) | instid1(VALU_DEP_2)
	v_mul_f64_e32 v[54:55], v[44:45], v[40:41]
	v_add_f64_e64 v[36:37], v[56:57], -v[36:37]
	s_delay_alu instid0(VALU_DEP_2) | instskip(NEXT) | instid1(VALU_DEP_1)
	v_fma_f64 v[44:45], v[44:45], v[40:41], -v[54:55]
	v_fmac_f64_e32 v[44:45], v[38:39], v[40:41]
	s_delay_alu instid0(VALU_DEP_1) | instskip(NEXT) | instid1(VALU_DEP_1)
	v_add_f64_e32 v[38:39], v[54:55], v[44:45]
	v_add_f64_e64 v[40:41], v[38:39], -v[54:55]
	s_delay_alu instid0(VALU_DEP_1) | instskip(SKIP_1) | instid1(VALU_DEP_2)
	v_add_f64_e64 v[40:41], v[44:45], -v[40:41]
	v_add_f64_e32 v[44:45], 0x3fe5555555555555, v[38:39]
	v_add_f64_e32 v[40:41], 0x3c8543b0d5df274d, v[40:41]
	s_delay_alu instid0(VALU_DEP_2) | instskip(NEXT) | instid1(VALU_DEP_1)
	v_add_f64_e32 v[54:55], 0xbfe5555555555555, v[44:45]
	v_add_f64_e64 v[38:39], v[38:39], -v[54:55]
	s_delay_alu instid0(VALU_DEP_1) | instskip(NEXT) | instid1(VALU_DEP_1)
	v_add_f64_e32 v[38:39], v[40:41], v[38:39]
	v_add_f64_e32 v[40:41], v[44:45], v[38:39]
	s_delay_alu instid0(VALU_DEP_1) | instskip(NEXT) | instid1(VALU_DEP_1)
	v_add_f64_e64 v[44:45], v[44:45], -v[40:41]
	v_add_f64_e32 v[38:39], v[38:39], v[44:45]
	v_mul_f64_e32 v[44:45], v[34:35], v[40:41]
	s_delay_alu instid0(VALU_DEP_1) | instskip(NEXT) | instid1(VALU_DEP_1)
	v_fma_f64 v[54:55], v[34:35], v[40:41], -v[44:45]
	v_fmac_f64_e32 v[54:55], v[34:35], v[38:39]
	s_delay_alu instid0(VALU_DEP_1) | instskip(NEXT) | instid1(VALU_DEP_1)
	v_fmac_f64_e32 v[54:55], v[36:37], v[40:41]
	v_add_f64_e32 v[34:35], v[44:45], v[54:55]
	s_delay_alu instid0(VALU_DEP_1) | instskip(SKIP_1) | instid1(VALU_DEP_2)
	v_add_f64_e64 v[36:37], v[34:35], -v[44:45]
	v_add_f64_e32 v[38:39], v[50:51], v[34:35]
	v_add_f64_e64 v[36:37], v[54:55], -v[36:37]
	s_delay_alu instid0(VALU_DEP_2) | instskip(NEXT) | instid1(VALU_DEP_2)
	v_add_f64_e64 v[40:41], v[38:39], -v[50:51]
	v_add_f64_e32 v[36:37], v[52:53], v[36:37]
	s_delay_alu instid0(VALU_DEP_2) | instskip(NEXT) | instid1(VALU_DEP_1)
	v_add_f64_e64 v[34:35], v[34:35], -v[40:41]
	v_add_f64_e32 v[34:35], v[36:37], v[34:35]
	s_delay_alu instid0(VALU_DEP_1) | instskip(NEXT) | instid1(VALU_DEP_1)
	v_add_f64_e32 v[36:37], v[38:39], v[34:35]
	v_add_f64_e64 v[38:39], v[36:37], -v[38:39]
	s_delay_alu instid0(VALU_DEP_1) | instskip(SKIP_1) | instid1(VALU_DEP_1)
	v_add_f64_e64 v[34:35], v[34:35], -v[38:39]
	v_add_f64_e32 v[38:39], v[46:47], v[36:37]
	v_add_f64_e64 v[40:41], v[38:39], -v[46:47]
	s_delay_alu instid0(VALU_DEP_1) | instskip(SKIP_2) | instid1(VALU_DEP_3)
	v_add_f64_e64 v[44:45], v[38:39], -v[40:41]
	v_add_f64_e64 v[36:37], v[36:37], -v[40:41]
	v_add_f64_e32 v[40:41], v[48:49], v[34:35]
	v_add_f64_e64 v[44:45], v[46:47], -v[44:45]
	s_delay_alu instid0(VALU_DEP_1) | instskip(NEXT) | instid1(VALU_DEP_3)
	v_add_f64_e32 v[36:37], v[36:37], v[44:45]
	v_add_f64_e64 v[44:45], v[40:41], -v[48:49]
	s_delay_alu instid0(VALU_DEP_2) | instskip(NEXT) | instid1(VALU_DEP_2)
	v_add_f64_e32 v[36:37], v[40:41], v[36:37]
	v_add_f64_e64 v[46:47], v[40:41], -v[44:45]
	v_add_f64_e64 v[34:35], v[34:35], -v[44:45]
	s_delay_alu instid0(VALU_DEP_3) | instskip(NEXT) | instid1(VALU_DEP_3)
	v_add_f64_e32 v[40:41], v[38:39], v[36:37]
	v_add_f64_e64 v[46:47], v[48:49], -v[46:47]
	s_delay_alu instid0(VALU_DEP_2) | instskip(NEXT) | instid1(VALU_DEP_2)
	v_add_f64_e64 v[38:39], v[40:41], -v[38:39]
	v_add_f64_e32 v[34:35], v[34:35], v[46:47]
	s_delay_alu instid0(VALU_DEP_2) | instskip(NEXT) | instid1(VALU_DEP_1)
	v_add_f64_e64 v[36:37], v[36:37], -v[38:39]
	v_add_f64_e32 v[34:35], v[34:35], v[36:37]
	s_delay_alu instid0(VALU_DEP_1) | instskip(NEXT) | instid1(VALU_DEP_1)
	v_add_f64_e32 v[36:37], v[40:41], v[34:35]
	v_add_f64_e64 v[38:39], v[36:37], -v[40:41]
	s_delay_alu instid0(VALU_DEP_1) | instskip(SKIP_1) | instid1(VALU_DEP_1)
	v_add_f64_e64 v[34:35], v[34:35], -v[38:39]
	v_mul_f64_e32 v[38:39], v[18:19], v[36:37]
	v_fma_f64 v[36:37], v[18:19], v[36:37], -v[38:39]
	v_cmp_class_f64_e64 vcc_lo, v[38:39], 0x204
	s_delay_alu instid0(VALU_DEP_2) | instskip(NEXT) | instid1(VALU_DEP_1)
	v_fmac_f64_e32 v[36:37], v[18:19], v[34:35]
	v_add_f64_e32 v[34:35], v[38:39], v[36:37]
	s_delay_alu instid0(VALU_DEP_1) | instskip(SKIP_1) | instid1(VALU_DEP_1)
	v_add_f64_e64 v[40:41], v[34:35], -v[38:39]
	v_dual_cndmask_b32 v35, v35, v39 :: v_dual_cndmask_b32 v34, v34, v38
	v_mul_f64_e32 v[38:39], 0x3ff71547652b82fe, v[34:35]
	v_cmp_neq_f64_e64 vcc_lo, 0x7ff00000, |v[34:35]|
	v_cmp_ngt_f64_e64 s0, 0xc090cc00, v[34:35]
	v_add_f64_e64 v[36:37], v[36:37], -v[40:41]
	s_delay_alu instid0(VALU_DEP_4) | instskip(NEXT) | instid1(VALU_DEP_2)
	v_rndne_f64_e32 v[38:39], v[38:39]
	v_dual_cndmask_b32 v37, 0, v37 :: v_dual_cndmask_b32 v36, 0, v36
	v_cmp_nlt_f64_e32 vcc_lo, 0x40900000, v[34:35]
	s_delay_alu instid0(VALU_DEP_3) | instskip(NEXT) | instid1(VALU_DEP_1)
	v_fmamk_f64 v[40:41], v[38:39], 0xbfe62e42fefa39ef, v[34:35]
	v_fmac_f64_e32 v[40:41], 0xbc7abc9e3b39803f, v[38:39]
	v_cvt_i32_f64_e32 v38, v[38:39]
	s_delay_alu instid0(VALU_DEP_2) | instskip(NEXT) | instid1(VALU_DEP_1)
	v_fmamk_f64 v[44:45], v[40:41], 0x3e5ade156a5dcb37, v[16:17]
	v_fmaak_f64 v[44:45], v[40:41], v[44:45], 0x3ec71dee623fde64
	s_delay_alu instid0(VALU_DEP_1) | instskip(NEXT) | instid1(VALU_DEP_1)
	v_fmaak_f64 v[44:45], v[40:41], v[44:45], 0x3efa01997c89e6b0
	v_fmaak_f64 v[44:45], v[40:41], v[44:45], 0x3f2a01a014761f6e
	s_delay_alu instid0(VALU_DEP_1) | instskip(NEXT) | instid1(VALU_DEP_1)
	v_fmaak_f64 v[44:45], v[40:41], v[44:45], 0x3f56c16c1852b7b0
	;; [unrolled: 3-line block ×4, first 2 shown]
	v_fma_f64 v[44:45], v[40:41], v[44:45], 1.0
	s_delay_alu instid0(VALU_DEP_1) | instskip(NEXT) | instid1(VALU_DEP_1)
	v_fma_f64 v[40:41], v[40:41], v[44:45], 1.0
	v_ldexp_f64 v[38:39], v[40:41], v38
	s_delay_alu instid0(VALU_DEP_1)
	v_cndmask_b32_e32 v39, 0x7ff00000, v39, vcc_lo
	s_and_b32 vcc_lo, s0, vcc_lo
	s_delay_alu instid0(VALU_DEP_1) | instid1(SALU_CYCLE_1)
	v_dual_cndmask_b32 v34, 0, v38, vcc_lo :: v_dual_cndmask_b32 v35, 0, v39, s0
	s_delay_alu instid0(VALU_DEP_1) | instskip(SKIP_1) | instid1(VALU_DEP_2)
	v_fma_f64 v[36:37], v[34:35], v[36:37], v[34:35]
	v_cmp_class_f64_e64 vcc_lo, v[34:35], 0x204
	v_dual_cndmask_b32 v38, v36, v34 :: v_dual_cndmask_b32 v39, v37, v35
	v_trunc_f64_e32 v[34:35], v[18:19]
	s_delay_alu instid0(VALU_DEP_1) | instskip(SKIP_1) | instid1(VALU_DEP_1)
	v_cmp_eq_f64_e32 vcc_lo, v[34:35], v[18:19]
	v_mul_f64_e32 v[34:35], 0.5, v[18:19]
	v_trunc_f64_e32 v[36:37], v[34:35]
	s_delay_alu instid0(VALU_DEP_1) | instskip(SKIP_1) | instid1(VALU_DEP_1)
	v_cmp_neq_f64_e64 s0, v[36:37], v[34:35]
	v_cndmask_b32_e32 v35, 0, v38, vcc_lo
	v_cndmask_b32_e64 v35, v38, v35, s1
	s_and_b32 s0, vcc_lo, s0
	s_delay_alu instid0(SALU_CYCLE_1) | instskip(SKIP_1) | instid1(VALU_DEP_2)
	v_cndmask_b32_e64 v19, 0x3ff00000, v33, s0
	v_cndmask_b32_e64 v36, 0, v33, s0
	v_bfi_b32 v19, 0x7fffffff, v39, v19
	s_delay_alu instid0(VALU_DEP_1) | instskip(SKIP_1) | instid1(VALU_DEP_2)
	v_cndmask_b32_e32 v34, 0x7ff80000, v19, vcc_lo
	v_cmp_eq_f64_e32 vcc_lo, 0, v[32:33]
	v_cndmask_b32_e64 v19, v19, v34, s1
	v_cmp_class_f64_e64 s1, v[32:33], 0x204
	v_cndmask_b32_e64 v34, 0x7ff00000, 0, vcc_lo
	s_or_b32 s1, vcc_lo, s1
	v_cmp_o_f64_e32 vcc_lo, v[32:33], v[32:33]
	s_delay_alu instid0(VALU_DEP_2) | instskip(NEXT) | instid1(VALU_DEP_1)
	v_bfi_b32 v34, 0x7fffffff, v34, v36
	v_cndmask_b32_e64 v19, v19, v34, s1
	v_cndmask_b32_e64 v34, v35, 0, s1
	s_delay_alu instid0(VALU_DEP_1) | instskip(NEXT) | instid1(VALU_DEP_3)
	v_cndmask_b32_e32 v32, 0, v34, vcc_lo
	v_cndmask_b32_e32 v33, 0x7ff80000, v19, vcc_lo
	s_delay_alu instid0(VALU_DEP_1) | instskip(SKIP_1) | instid1(VALU_DEP_2)
	v_add_f64_e32 v[30:31], v[30:31], v[32:33]
	v_fma_f64 v[32:33], -v[26:27], v[28:29], 1.0
	v_fma_f64 v[30:31], 2.0, v[30:31], v[8:9]
	s_delay_alu instid0(VALU_DEP_2) | instskip(NEXT) | instid1(VALU_DEP_2)
	v_fmac_f64_e32 v[28:29], v[28:29], v[32:33]
	v_add_f64_e32 v[30:31], v[10:11], v[30:31]
	s_delay_alu instid0(VALU_DEP_2) | instskip(NEXT) | instid1(VALU_DEP_1)
	v_fma_f64 v[32:33], -v[26:27], v[28:29], 1.0
	v_fmac_f64_e32 v[28:29], v[28:29], v[32:33]
	v_div_scale_f64 v[32:33], vcc_lo, v[24:25], s[12:13], v[24:25]
	s_delay_alu instid0(VALU_DEP_1) | instskip(NEXT) | instid1(VALU_DEP_1)
	v_mul_f64_e32 v[34:35], v[32:33], v[28:29]
	v_fma_f64 v[26:27], -v[26:27], v[34:35], v[32:33]
	s_delay_alu instid0(VALU_DEP_1) | instskip(NEXT) | instid1(VALU_DEP_1)
	v_div_fmas_f64 v[26:27], v[26:27], v[28:29], v[34:35]
	v_div_fixup_f64 v[28:29], v[26:27], s[12:13], v[24:25]
	s_delay_alu instid0(VALU_DEP_1) | instskip(NEXT) | instid1(VALU_DEP_1)
	v_div_scale_f64 v[26:27], null, s[12:13], s[12:13], v[28:29]
	v_rcp_f64_e32 v[32:33], v[26:27]
	v_nop
	s_delay_alu instid0(TRANS32_DEP_1) | instskip(NEXT) | instid1(VALU_DEP_1)
	v_fma_f64 v[34:35], -v[26:27], v[32:33], 1.0
	v_fmac_f64_e32 v[32:33], v[32:33], v[34:35]
	s_delay_alu instid0(VALU_DEP_1) | instskip(NEXT) | instid1(VALU_DEP_1)
	v_fma_f64 v[34:35], -v[26:27], v[32:33], 1.0
	v_fmac_f64_e32 v[32:33], v[32:33], v[34:35]
	v_div_scale_f64 v[34:35], vcc_lo, v[28:29], s[12:13], v[28:29]
	s_delay_alu instid0(VALU_DEP_1) | instskip(NEXT) | instid1(VALU_DEP_1)
	v_mul_f64_e32 v[36:37], v[34:35], v[32:33]
	v_fma_f64 v[26:27], -v[26:27], v[36:37], v[34:35]
	s_delay_alu instid0(VALU_DEP_1) | instskip(NEXT) | instid1(VALU_DEP_1)
	v_div_fmas_f64 v[26:27], v[26:27], v[32:33], v[36:37]
	v_div_fixup_f64 v[26:27], v[26:27], s[12:13], v[28:29]
	s_delay_alu instid0(VALU_DEP_1) | instskip(SKIP_4) | instid1(VALU_DEP_4)
	v_cmp_eq_f64_e32 vcc_lo, 1.0, v[26:27]
	v_frexp_mant_f64_e64 v[32:33], |v[26:27]|
	v_frexp_exp_i32_f64_e32 v34, v[26:27]
	v_cmp_gt_f64_e64 s1, 0, v[26:27]
	v_cndmask_b32_e64 v19, 2.0, 0x3ff00000, vcc_lo
	v_cmp_gt_f64_e32 vcc_lo, s[6:7], v[32:33]
	v_cndmask_b32_e64 v35, 0, 1, vcc_lo
	v_subrev_co_ci_u32_e64 v43, null, 0, v34, vcc_lo
	s_delay_alu instid0(VALU_DEP_2) | instskip(NEXT) | instid1(VALU_DEP_1)
	v_ldexp_f64 v[32:33], v[32:33], v35
	v_add_f64_e32 v[36:37], 1.0, v[32:33]
	v_add_f64_e32 v[34:35], -1.0, v[32:33]
	s_delay_alu instid0(VALU_DEP_2) | instskip(NEXT) | instid1(VALU_DEP_1)
	v_add_f64_e32 v[38:39], -1.0, v[36:37]
	v_add_f64_e64 v[32:33], v[32:33], -v[38:39]
	v_rcp_f64_e32 v[38:39], v[36:37]
	v_nop
	s_delay_alu instid0(TRANS32_DEP_1) | instskip(NEXT) | instid1(VALU_DEP_1)
	v_fma_f64 v[40:41], -v[36:37], v[38:39], 1.0
	v_fmac_f64_e32 v[38:39], v[40:41], v[38:39]
	s_delay_alu instid0(VALU_DEP_1) | instskip(NEXT) | instid1(VALU_DEP_1)
	v_fma_f64 v[40:41], -v[36:37], v[38:39], 1.0
	v_fmac_f64_e32 v[38:39], v[40:41], v[38:39]
	s_delay_alu instid0(VALU_DEP_1) | instskip(NEXT) | instid1(VALU_DEP_1)
	v_mul_f64_e32 v[40:41], v[34:35], v[38:39]
	v_mul_f64_e32 v[44:45], v[36:37], v[40:41]
	s_delay_alu instid0(VALU_DEP_1) | instskip(NEXT) | instid1(VALU_DEP_1)
	v_fma_f64 v[36:37], v[40:41], v[36:37], -v[44:45]
	v_fmac_f64_e32 v[36:37], v[40:41], v[32:33]
	s_delay_alu instid0(VALU_DEP_1) | instskip(NEXT) | instid1(VALU_DEP_1)
	v_add_f64_e32 v[32:33], v[44:45], v[36:37]
	v_add_f64_e64 v[46:47], v[34:35], -v[32:33]
	v_add_f64_e64 v[44:45], v[32:33], -v[44:45]
	s_delay_alu instid0(VALU_DEP_2) | instskip(NEXT) | instid1(VALU_DEP_1)
	v_add_f64_e64 v[34:35], v[34:35], -v[46:47]
	v_add_f64_e64 v[32:33], v[34:35], -v[32:33]
	s_delay_alu instid0(VALU_DEP_3) | instskip(SKIP_1) | instid1(VALU_DEP_2)
	v_add_f64_e64 v[34:35], v[44:45], -v[36:37]
	v_cvt_f64_i32_e32 v[44:45], v43
	v_add_f64_e32 v[32:33], v[34:35], v[32:33]
	s_delay_alu instid0(VALU_DEP_1) | instskip(NEXT) | instid1(VALU_DEP_3)
	v_add_f64_e32 v[32:33], v[46:47], v[32:33]
	v_mul_f64_e32 v[46:47], 0x3fe62e42fefa39ef, v[44:45]
	s_delay_alu instid0(VALU_DEP_2) | instskip(NEXT) | instid1(VALU_DEP_2)
	v_mul_f64_e32 v[32:33], v[38:39], v[32:33]
	v_fma_f64 v[48:49], v[44:45], s[8:9], -v[46:47]
	s_delay_alu instid0(VALU_DEP_2) | instskip(NEXT) | instid1(VALU_DEP_2)
	v_add_f64_e32 v[34:35], v[40:41], v[32:33]
	v_fmac_f64_e32 v[48:49], 0x3c7abc9e3b39803f, v[44:45]
	s_delay_alu instid0(VALU_DEP_2) | instskip(NEXT) | instid1(VALU_DEP_2)
	v_add_f64_e64 v[36:37], v[34:35], -v[40:41]
	v_add_f64_e32 v[44:45], v[46:47], v[48:49]
	s_delay_alu instid0(VALU_DEP_2) | instskip(SKIP_1) | instid1(VALU_DEP_3)
	v_add_f64_e64 v[32:33], v[32:33], -v[36:37]
	v_mul_f64_e32 v[36:37], v[34:35], v[34:35]
	v_add_f64_e64 v[46:47], v[44:45], -v[46:47]
	s_delay_alu instid0(VALU_DEP_3) | instskip(NEXT) | instid1(VALU_DEP_3)
	v_add_f64_e32 v[40:41], v[32:33], v[32:33]
	v_fma_f64 v[38:39], v[34:35], v[34:35], -v[36:37]
	v_ldexp_f64 v[50:51], v[32:33], 1
	s_delay_alu instid0(VALU_DEP_4) | instskip(SKIP_1) | instid1(VALU_DEP_4)
	v_add_f64_e64 v[46:47], v[48:49], -v[46:47]
	v_ldexp_f64 v[48:49], v[34:35], 1
	v_fmac_f64_e32 v[38:39], v[34:35], v[40:41]
	s_delay_alu instid0(VALU_DEP_1) | instskip(NEXT) | instid1(VALU_DEP_1)
	v_add_f64_e32 v[40:41], v[36:37], v[38:39]
	v_mul_f64_e32 v[52:53], v[34:35], v[40:41]
	v_add_f64_e64 v[36:37], v[40:41], -v[36:37]
	s_delay_alu instid0(VALU_DEP_2) | instskip(NEXT) | instid1(VALU_DEP_2)
	v_fma_f64 v[54:55], v[40:41], v[34:35], -v[52:53]
	v_add_f64_e64 v[36:37], v[38:39], -v[36:37]
	v_fmamk_f64 v[38:39], v[40:41], 0x3fbdee674222de17, v[14:15]
	s_delay_alu instid0(VALU_DEP_1) | instskip(NEXT) | instid1(VALU_DEP_1)
	v_fmaak_f64 v[38:39], v[40:41], v[38:39], 0x3fbe25e43abe935a
	v_fmaak_f64 v[38:39], v[40:41], v[38:39], 0x3fc110ef47e6c9c2
	s_delay_alu instid0(VALU_DEP_1) | instskip(NEXT) | instid1(VALU_DEP_1)
	v_fmaak_f64 v[38:39], v[40:41], v[38:39], 0x3fc3b13bcfa74449
	v_fmaak_f64 v[38:39], v[40:41], v[38:39], 0x3fc745d171bf3c30
	v_fmac_f64_e32 v[54:55], v[40:41], v[32:33]
	s_delay_alu instid0(VALU_DEP_2) | instskip(NEXT) | instid1(VALU_DEP_1)
	v_fmaak_f64 v[38:39], v[40:41], v[38:39], 0x3fcc71c71c7792ce
	v_fmaak_f64 v[38:39], v[40:41], v[38:39], 0x3fd24924924920da
	s_delay_alu instid0(VALU_DEP_1) | instskip(NEXT) | instid1(VALU_DEP_4)
	v_fmaak_f64 v[38:39], v[40:41], v[38:39], 0x3fd999999999999c
	v_fmac_f64_e32 v[54:55], v[36:37], v[34:35]
	s_delay_alu instid0(VALU_DEP_1) | instskip(NEXT) | instid1(VALU_DEP_1)
	v_add_f64_e32 v[32:33], v[52:53], v[54:55]
	v_add_f64_e64 v[34:35], v[32:33], -v[52:53]
	s_delay_alu instid0(VALU_DEP_4) | instskip(NEXT) | instid1(VALU_DEP_2)
	v_mul_f64_e32 v[52:53], v[40:41], v[38:39]
	v_add_f64_e64 v[34:35], v[54:55], -v[34:35]
	s_delay_alu instid0(VALU_DEP_2) | instskip(NEXT) | instid1(VALU_DEP_1)
	v_fma_f64 v[40:41], v[40:41], v[38:39], -v[52:53]
	v_fmac_f64_e32 v[40:41], v[36:37], v[38:39]
	s_delay_alu instid0(VALU_DEP_1) | instskip(NEXT) | instid1(VALU_DEP_1)
	v_add_f64_e32 v[36:37], v[52:53], v[40:41]
	v_add_f64_e64 v[38:39], v[36:37], -v[52:53]
	s_delay_alu instid0(VALU_DEP_1) | instskip(SKIP_1) | instid1(VALU_DEP_2)
	v_add_f64_e64 v[38:39], v[40:41], -v[38:39]
	v_add_f64_e32 v[40:41], 0x3fe5555555555555, v[36:37]
	v_add_f64_e32 v[38:39], 0x3c8543b0d5df274d, v[38:39]
	s_delay_alu instid0(VALU_DEP_2) | instskip(NEXT) | instid1(VALU_DEP_1)
	v_add_f64_e32 v[52:53], 0xbfe5555555555555, v[40:41]
	v_add_f64_e64 v[36:37], v[36:37], -v[52:53]
	s_delay_alu instid0(VALU_DEP_1) | instskip(NEXT) | instid1(VALU_DEP_1)
	v_add_f64_e32 v[36:37], v[38:39], v[36:37]
	v_add_f64_e32 v[38:39], v[40:41], v[36:37]
	s_delay_alu instid0(VALU_DEP_1) | instskip(NEXT) | instid1(VALU_DEP_1)
	v_add_f64_e64 v[40:41], v[40:41], -v[38:39]
	v_add_f64_e32 v[36:37], v[36:37], v[40:41]
	v_mul_f64_e32 v[40:41], v[32:33], v[38:39]
	s_delay_alu instid0(VALU_DEP_1) | instskip(NEXT) | instid1(VALU_DEP_1)
	v_fma_f64 v[52:53], v[32:33], v[38:39], -v[40:41]
	v_fmac_f64_e32 v[52:53], v[32:33], v[36:37]
	s_delay_alu instid0(VALU_DEP_1) | instskip(NEXT) | instid1(VALU_DEP_1)
	v_fmac_f64_e32 v[52:53], v[34:35], v[38:39]
	v_add_f64_e32 v[32:33], v[40:41], v[52:53]
	s_delay_alu instid0(VALU_DEP_1) | instskip(SKIP_1) | instid1(VALU_DEP_2)
	v_add_f64_e64 v[34:35], v[32:33], -v[40:41]
	v_add_f64_e32 v[36:37], v[48:49], v[32:33]
	v_add_f64_e64 v[34:35], v[52:53], -v[34:35]
	s_delay_alu instid0(VALU_DEP_2) | instskip(NEXT) | instid1(VALU_DEP_2)
	v_add_f64_e64 v[38:39], v[36:37], -v[48:49]
	v_add_f64_e32 v[34:35], v[50:51], v[34:35]
	s_delay_alu instid0(VALU_DEP_2) | instskip(NEXT) | instid1(VALU_DEP_1)
	v_add_f64_e64 v[32:33], v[32:33], -v[38:39]
	v_add_f64_e32 v[32:33], v[34:35], v[32:33]
	s_delay_alu instid0(VALU_DEP_1) | instskip(NEXT) | instid1(VALU_DEP_1)
	v_add_f64_e32 v[34:35], v[36:37], v[32:33]
	v_add_f64_e64 v[36:37], v[34:35], -v[36:37]
	s_delay_alu instid0(VALU_DEP_1) | instskip(SKIP_1) | instid1(VALU_DEP_1)
	v_add_f64_e64 v[32:33], v[32:33], -v[36:37]
	v_add_f64_e32 v[36:37], v[44:45], v[34:35]
	v_add_f64_e64 v[38:39], v[36:37], -v[44:45]
	s_delay_alu instid0(VALU_DEP_1) | instskip(SKIP_2) | instid1(VALU_DEP_3)
	v_add_f64_e64 v[40:41], v[36:37], -v[38:39]
	v_add_f64_e64 v[34:35], v[34:35], -v[38:39]
	v_add_f64_e32 v[38:39], v[46:47], v[32:33]
	v_add_f64_e64 v[40:41], v[44:45], -v[40:41]
	s_delay_alu instid0(VALU_DEP_1) | instskip(NEXT) | instid1(VALU_DEP_3)
	v_add_f64_e32 v[34:35], v[34:35], v[40:41]
	v_add_f64_e64 v[40:41], v[38:39], -v[46:47]
	s_delay_alu instid0(VALU_DEP_2) | instskip(NEXT) | instid1(VALU_DEP_2)
	v_add_f64_e32 v[34:35], v[38:39], v[34:35]
	v_add_f64_e64 v[44:45], v[38:39], -v[40:41]
	v_add_f64_e64 v[32:33], v[32:33], -v[40:41]
	s_delay_alu instid0(VALU_DEP_3) | instskip(NEXT) | instid1(VALU_DEP_3)
	v_add_f64_e32 v[38:39], v[36:37], v[34:35]
	v_add_f64_e64 v[44:45], v[46:47], -v[44:45]
	s_delay_alu instid0(VALU_DEP_2) | instskip(NEXT) | instid1(VALU_DEP_2)
	v_add_f64_e64 v[36:37], v[38:39], -v[36:37]
	v_add_f64_e32 v[32:33], v[32:33], v[44:45]
	s_delay_alu instid0(VALU_DEP_2) | instskip(NEXT) | instid1(VALU_DEP_1)
	v_add_f64_e64 v[34:35], v[34:35], -v[36:37]
	v_add_f64_e32 v[32:33], v[32:33], v[34:35]
	s_delay_alu instid0(VALU_DEP_1) | instskip(NEXT) | instid1(VALU_DEP_1)
	v_add_f64_e32 v[34:35], v[38:39], v[32:33]
	v_add_f64_e64 v[36:37], v[34:35], -v[38:39]
	s_delay_alu instid0(VALU_DEP_1) | instskip(SKIP_1) | instid1(VALU_DEP_1)
	v_add_f64_e64 v[32:33], v[32:33], -v[36:37]
	v_mul_f64_e32 v[36:37], v[18:19], v[34:35]
	v_fma_f64 v[34:35], v[18:19], v[34:35], -v[36:37]
	v_cmp_class_f64_e64 vcc_lo, v[36:37], 0x204
	s_delay_alu instid0(VALU_DEP_2) | instskip(NEXT) | instid1(VALU_DEP_1)
	v_fmac_f64_e32 v[34:35], v[18:19], v[32:33]
	v_add_f64_e32 v[32:33], v[36:37], v[34:35]
	s_delay_alu instid0(VALU_DEP_1) | instskip(SKIP_1) | instid1(VALU_DEP_1)
	v_add_f64_e64 v[38:39], v[32:33], -v[36:37]
	v_dual_cndmask_b32 v33, v33, v37 :: v_dual_cndmask_b32 v32, v32, v36
	v_mul_f64_e32 v[36:37], 0x3ff71547652b82fe, v[32:33]
	v_cmp_neq_f64_e64 vcc_lo, 0x7ff00000, |v[32:33]|
	v_cmp_ngt_f64_e64 s0, 0xc090cc00, v[32:33]
	v_add_f64_e64 v[34:35], v[34:35], -v[38:39]
	s_delay_alu instid0(VALU_DEP_4) | instskip(NEXT) | instid1(VALU_DEP_2)
	v_rndne_f64_e32 v[36:37], v[36:37]
	v_dual_cndmask_b32 v35, 0, v35 :: v_dual_cndmask_b32 v34, 0, v34
	v_cmp_nlt_f64_e32 vcc_lo, 0x40900000, v[32:33]
	s_delay_alu instid0(VALU_DEP_3) | instskip(NEXT) | instid1(VALU_DEP_1)
	v_fmamk_f64 v[38:39], v[36:37], 0xbfe62e42fefa39ef, v[32:33]
	v_fmac_f64_e32 v[38:39], 0xbc7abc9e3b39803f, v[36:37]
	v_cvt_i32_f64_e32 v36, v[36:37]
	s_delay_alu instid0(VALU_DEP_2) | instskip(NEXT) | instid1(VALU_DEP_1)
	v_fmamk_f64 v[40:41], v[38:39], 0x3e5ade156a5dcb37, v[16:17]
	v_fmaak_f64 v[40:41], v[38:39], v[40:41], 0x3ec71dee623fde64
	s_delay_alu instid0(VALU_DEP_1) | instskip(NEXT) | instid1(VALU_DEP_1)
	v_fmaak_f64 v[40:41], v[38:39], v[40:41], 0x3efa01997c89e6b0
	v_fmaak_f64 v[40:41], v[38:39], v[40:41], 0x3f2a01a014761f6e
	s_delay_alu instid0(VALU_DEP_1) | instskip(NEXT) | instid1(VALU_DEP_1)
	v_fmaak_f64 v[40:41], v[38:39], v[40:41], 0x3f56c16c1852b7b0
	;; [unrolled: 3-line block ×4, first 2 shown]
	v_fma_f64 v[40:41], v[38:39], v[40:41], 1.0
	s_delay_alu instid0(VALU_DEP_1) | instskip(NEXT) | instid1(VALU_DEP_1)
	v_fma_f64 v[38:39], v[38:39], v[40:41], 1.0
	v_ldexp_f64 v[36:37], v[38:39], v36
	s_delay_alu instid0(VALU_DEP_1)
	v_cndmask_b32_e32 v37, 0x7ff00000, v37, vcc_lo
	s_and_b32 vcc_lo, s0, vcc_lo
	s_delay_alu instid0(VALU_DEP_1) | instid1(SALU_CYCLE_1)
	v_dual_cndmask_b32 v32, 0, v36, vcc_lo :: v_dual_cndmask_b32 v33, 0, v37, s0
	s_delay_alu instid0(VALU_DEP_1) | instskip(SKIP_1) | instid1(VALU_DEP_2)
	v_fma_f64 v[34:35], v[32:33], v[34:35], v[32:33]
	v_cmp_class_f64_e64 vcc_lo, v[32:33], 0x204
	v_dual_cndmask_b32 v36, v34, v32 :: v_dual_cndmask_b32 v37, v35, v33
	v_trunc_f64_e32 v[32:33], v[18:19]
	s_delay_alu instid0(VALU_DEP_1) | instskip(SKIP_1) | instid1(VALU_DEP_1)
	v_cmp_eq_f64_e32 vcc_lo, v[32:33], v[18:19]
	v_mul_f64_e32 v[32:33], 0.5, v[18:19]
	v_trunc_f64_e32 v[34:35], v[32:33]
	s_delay_alu instid0(VALU_DEP_1) | instskip(SKIP_1) | instid1(VALU_DEP_1)
	v_cmp_neq_f64_e64 s0, v[34:35], v[32:33]
	v_cndmask_b32_e32 v33, 0, v36, vcc_lo
	v_cndmask_b32_e64 v33, v36, v33, s1
	s_and_b32 s0, vcc_lo, s0
	s_delay_alu instid0(SALU_CYCLE_1) | instskip(SKIP_1) | instid1(VALU_DEP_2)
	v_cndmask_b32_e64 v19, 0x3ff00000, v27, s0
	v_cndmask_b32_e64 v34, 0, v27, s0
	v_bfi_b32 v19, 0x7fffffff, v37, v19
	s_delay_alu instid0(VALU_DEP_1) | instskip(SKIP_1) | instid1(VALU_DEP_2)
	v_cndmask_b32_e32 v32, 0x7ff80000, v19, vcc_lo
	v_cmp_eq_f64_e32 vcc_lo, 0, v[26:27]
	v_cndmask_b32_e64 v19, v19, v32, s1
	v_cmp_class_f64_e64 s1, v[26:27], 0x204
	v_cndmask_b32_e64 v32, 0x7ff00000, 0, vcc_lo
	s_or_b32 s1, vcc_lo, s1
	v_cmp_o_f64_e32 vcc_lo, v[26:27], v[26:27]
	v_div_scale_f64 v[26:27], null, s[14:15], s[14:15], v[22:23]
	s_delay_alu instid0(VALU_DEP_3) | instskip(NEXT) | instid1(VALU_DEP_1)
	v_bfi_b32 v32, 0x7fffffff, v32, v34
	v_cndmask_b32_e64 v19, v19, v32, s1
	v_cndmask_b32_e64 v32, v33, 0, s1
	s_delay_alu instid0(VALU_DEP_1) | instskip(SKIP_1) | instid1(VALU_DEP_3)
	v_cndmask_b32_e32 v32, 0, v32, vcc_lo
	v_rcp_f64_e32 v[34:35], v[26:27]
	v_cndmask_b32_e32 v33, 0x7ff80000, v19, vcc_lo
	s_delay_alu instid0(TRANS32_DEP_1) | instskip(NEXT) | instid1(VALU_DEP_1)
	v_fma_f64 v[36:37], -v[26:27], v[34:35], 1.0
	v_fmac_f64_e32 v[34:35], v[34:35], v[36:37]
	s_delay_alu instid0(VALU_DEP_1) | instskip(NEXT) | instid1(VALU_DEP_1)
	v_fma_f64 v[36:37], -v[26:27], v[34:35], 1.0
	v_fmac_f64_e32 v[34:35], v[34:35], v[36:37]
	v_div_scale_f64 v[36:37], vcc_lo, v[22:23], s[14:15], v[22:23]
	s_delay_alu instid0(VALU_DEP_1) | instskip(NEXT) | instid1(VALU_DEP_1)
	v_mul_f64_e32 v[38:39], v[36:37], v[34:35]
	v_fma_f64 v[26:27], -v[26:27], v[38:39], v[36:37]
	s_delay_alu instid0(VALU_DEP_1) | instskip(NEXT) | instid1(VALU_DEP_1)
	v_div_fmas_f64 v[26:27], v[26:27], v[34:35], v[38:39]
	v_div_fixup_f64 v[26:27], v[26:27], s[14:15], v[22:23]
	s_delay_alu instid0(VALU_DEP_1) | instskip(NEXT) | instid1(VALU_DEP_1)
	v_div_scale_f64 v[34:35], null, s[14:15], s[14:15], v[26:27]
	v_rcp_f64_e32 v[36:37], v[34:35]
	v_nop
	s_delay_alu instid0(TRANS32_DEP_1) | instskip(NEXT) | instid1(VALU_DEP_1)
	v_fma_f64 v[38:39], -v[34:35], v[36:37], 1.0
	v_fmac_f64_e32 v[36:37], v[36:37], v[38:39]
	s_delay_alu instid0(VALU_DEP_1) | instskip(NEXT) | instid1(VALU_DEP_1)
	v_fma_f64 v[38:39], -v[34:35], v[36:37], 1.0
	v_fmac_f64_e32 v[36:37], v[36:37], v[38:39]
	v_div_scale_f64 v[38:39], vcc_lo, v[26:27], s[14:15], v[26:27]
	s_delay_alu instid0(VALU_DEP_1) | instskip(NEXT) | instid1(VALU_DEP_1)
	v_mul_f64_e32 v[40:41], v[38:39], v[36:37]
	v_fma_f64 v[34:35], -v[34:35], v[40:41], v[38:39]
	s_delay_alu instid0(VALU_DEP_1) | instskip(NEXT) | instid1(VALU_DEP_1)
	v_div_fmas_f64 v[34:35], v[34:35], v[36:37], v[40:41]
	v_div_fixup_f64 v[34:35], v[34:35], s[14:15], v[26:27]
	s_delay_alu instid0(VALU_DEP_1) | instskip(SKIP_4) | instid1(VALU_DEP_4)
	v_cmp_eq_f64_e32 vcc_lo, 1.0, v[34:35]
	v_frexp_mant_f64_e64 v[36:37], |v[34:35]|
	v_frexp_exp_i32_f64_e32 v38, v[34:35]
	v_cmp_gt_f64_e64 s1, 0, v[34:35]
	v_cndmask_b32_e64 v19, 2.0, 0x3ff00000, vcc_lo
	v_cmp_gt_f64_e32 vcc_lo, s[6:7], v[36:37]
	v_cndmask_b32_e64 v39, 0, 1, vcc_lo
	v_subrev_co_ci_u32_e64 v43, null, 0, v38, vcc_lo
	s_delay_alu instid0(VALU_DEP_2) | instskip(NEXT) | instid1(VALU_DEP_1)
	v_ldexp_f64 v[36:37], v[36:37], v39
	v_add_f64_e32 v[40:41], 1.0, v[36:37]
	v_add_f64_e32 v[38:39], -1.0, v[36:37]
	s_delay_alu instid0(VALU_DEP_2) | instskip(NEXT) | instid1(VALU_DEP_1)
	v_add_f64_e32 v[44:45], -1.0, v[40:41]
	v_add_f64_e64 v[36:37], v[36:37], -v[44:45]
	v_rcp_f64_e32 v[44:45], v[40:41]
	v_nop
	s_delay_alu instid0(TRANS32_DEP_1) | instskip(NEXT) | instid1(VALU_DEP_1)
	v_fma_f64 v[46:47], -v[40:41], v[44:45], 1.0
	v_fmac_f64_e32 v[44:45], v[46:47], v[44:45]
	s_delay_alu instid0(VALU_DEP_1) | instskip(NEXT) | instid1(VALU_DEP_1)
	v_fma_f64 v[46:47], -v[40:41], v[44:45], 1.0
	v_fmac_f64_e32 v[44:45], v[46:47], v[44:45]
	s_delay_alu instid0(VALU_DEP_1) | instskip(NEXT) | instid1(VALU_DEP_1)
	v_mul_f64_e32 v[46:47], v[38:39], v[44:45]
	v_mul_f64_e32 v[48:49], v[40:41], v[46:47]
	s_delay_alu instid0(VALU_DEP_1) | instskip(NEXT) | instid1(VALU_DEP_1)
	v_fma_f64 v[40:41], v[46:47], v[40:41], -v[48:49]
	v_fmac_f64_e32 v[40:41], v[46:47], v[36:37]
	s_delay_alu instid0(VALU_DEP_1) | instskip(NEXT) | instid1(VALU_DEP_1)
	v_add_f64_e32 v[36:37], v[48:49], v[40:41]
	v_add_f64_e64 v[50:51], v[38:39], -v[36:37]
	v_add_f64_e64 v[48:49], v[36:37], -v[48:49]
	s_delay_alu instid0(VALU_DEP_2) | instskip(NEXT) | instid1(VALU_DEP_1)
	v_add_f64_e64 v[38:39], v[38:39], -v[50:51]
	v_add_f64_e64 v[36:37], v[38:39], -v[36:37]
	s_delay_alu instid0(VALU_DEP_3) | instskip(SKIP_1) | instid1(VALU_DEP_2)
	v_add_f64_e64 v[38:39], v[48:49], -v[40:41]
	v_cvt_f64_i32_e32 v[48:49], v43
	v_add_f64_e32 v[36:37], v[38:39], v[36:37]
	s_delay_alu instid0(VALU_DEP_1) | instskip(NEXT) | instid1(VALU_DEP_3)
	v_add_f64_e32 v[36:37], v[50:51], v[36:37]
	v_mul_f64_e32 v[50:51], 0x3fe62e42fefa39ef, v[48:49]
	s_delay_alu instid0(VALU_DEP_2) | instskip(NEXT) | instid1(VALU_DEP_2)
	v_mul_f64_e32 v[36:37], v[44:45], v[36:37]
	v_fma_f64 v[52:53], v[48:49], s[8:9], -v[50:51]
	s_delay_alu instid0(VALU_DEP_2) | instskip(NEXT) | instid1(VALU_DEP_2)
	v_add_f64_e32 v[38:39], v[46:47], v[36:37]
	v_fmac_f64_e32 v[52:53], 0x3c7abc9e3b39803f, v[48:49]
	s_delay_alu instid0(VALU_DEP_2) | instskip(NEXT) | instid1(VALU_DEP_2)
	v_add_f64_e64 v[40:41], v[38:39], -v[46:47]
	v_add_f64_e32 v[48:49], v[50:51], v[52:53]
	s_delay_alu instid0(VALU_DEP_2) | instskip(SKIP_1) | instid1(VALU_DEP_3)
	v_add_f64_e64 v[36:37], v[36:37], -v[40:41]
	v_mul_f64_e32 v[40:41], v[38:39], v[38:39]
	v_add_f64_e64 v[50:51], v[48:49], -v[50:51]
	s_delay_alu instid0(VALU_DEP_3) | instskip(NEXT) | instid1(VALU_DEP_3)
	v_add_f64_e32 v[46:47], v[36:37], v[36:37]
	v_fma_f64 v[44:45], v[38:39], v[38:39], -v[40:41]
	v_ldexp_f64 v[54:55], v[36:37], 1
	s_delay_alu instid0(VALU_DEP_4) | instskip(SKIP_1) | instid1(VALU_DEP_4)
	v_add_f64_e64 v[50:51], v[52:53], -v[50:51]
	v_ldexp_f64 v[52:53], v[38:39], 1
	v_fmac_f64_e32 v[44:45], v[38:39], v[46:47]
	s_delay_alu instid0(VALU_DEP_1) | instskip(NEXT) | instid1(VALU_DEP_1)
	v_add_f64_e32 v[46:47], v[40:41], v[44:45]
	v_mul_f64_e32 v[56:57], v[38:39], v[46:47]
	v_add_f64_e64 v[40:41], v[46:47], -v[40:41]
	s_delay_alu instid0(VALU_DEP_2) | instskip(NEXT) | instid1(VALU_DEP_2)
	v_fma_f64 v[58:59], v[46:47], v[38:39], -v[56:57]
	v_add_f64_e64 v[40:41], v[44:45], -v[40:41]
	v_fmamk_f64 v[44:45], v[46:47], 0x3fbdee674222de17, v[14:15]
	s_delay_alu instid0(VALU_DEP_1) | instskip(NEXT) | instid1(VALU_DEP_1)
	v_fmaak_f64 v[44:45], v[46:47], v[44:45], 0x3fbe25e43abe935a
	v_fmaak_f64 v[44:45], v[46:47], v[44:45], 0x3fc110ef47e6c9c2
	s_delay_alu instid0(VALU_DEP_1) | instskip(NEXT) | instid1(VALU_DEP_1)
	v_fmaak_f64 v[44:45], v[46:47], v[44:45], 0x3fc3b13bcfa74449
	v_fmaak_f64 v[44:45], v[46:47], v[44:45], 0x3fc745d171bf3c30
	v_fmac_f64_e32 v[58:59], v[46:47], v[36:37]
	s_delay_alu instid0(VALU_DEP_2) | instskip(NEXT) | instid1(VALU_DEP_1)
	v_fmaak_f64 v[44:45], v[46:47], v[44:45], 0x3fcc71c71c7792ce
	v_fmaak_f64 v[44:45], v[46:47], v[44:45], 0x3fd24924924920da
	s_delay_alu instid0(VALU_DEP_1) | instskip(NEXT) | instid1(VALU_DEP_4)
	v_fmaak_f64 v[44:45], v[46:47], v[44:45], 0x3fd999999999999c
	v_fmac_f64_e32 v[58:59], v[40:41], v[38:39]
	s_delay_alu instid0(VALU_DEP_1) | instskip(NEXT) | instid1(VALU_DEP_1)
	v_add_f64_e32 v[36:37], v[56:57], v[58:59]
	v_add_f64_e64 v[38:39], v[36:37], -v[56:57]
	s_delay_alu instid0(VALU_DEP_4) | instskip(NEXT) | instid1(VALU_DEP_2)
	v_mul_f64_e32 v[56:57], v[46:47], v[44:45]
	v_add_f64_e64 v[38:39], v[58:59], -v[38:39]
	s_delay_alu instid0(VALU_DEP_2) | instskip(NEXT) | instid1(VALU_DEP_1)
	v_fma_f64 v[46:47], v[46:47], v[44:45], -v[56:57]
	v_fmac_f64_e32 v[46:47], v[40:41], v[44:45]
	s_delay_alu instid0(VALU_DEP_1) | instskip(NEXT) | instid1(VALU_DEP_1)
	v_add_f64_e32 v[40:41], v[56:57], v[46:47]
	v_add_f64_e64 v[44:45], v[40:41], -v[56:57]
	s_delay_alu instid0(VALU_DEP_1) | instskip(SKIP_1) | instid1(VALU_DEP_2)
	v_add_f64_e64 v[44:45], v[46:47], -v[44:45]
	v_add_f64_e32 v[46:47], 0x3fe5555555555555, v[40:41]
	v_add_f64_e32 v[44:45], 0x3c8543b0d5df274d, v[44:45]
	s_delay_alu instid0(VALU_DEP_2) | instskip(NEXT) | instid1(VALU_DEP_1)
	v_add_f64_e32 v[56:57], 0xbfe5555555555555, v[46:47]
	v_add_f64_e64 v[40:41], v[40:41], -v[56:57]
	s_delay_alu instid0(VALU_DEP_1) | instskip(NEXT) | instid1(VALU_DEP_1)
	v_add_f64_e32 v[40:41], v[44:45], v[40:41]
	v_add_f64_e32 v[44:45], v[46:47], v[40:41]
	s_delay_alu instid0(VALU_DEP_1) | instskip(NEXT) | instid1(VALU_DEP_1)
	v_add_f64_e64 v[46:47], v[46:47], -v[44:45]
	v_add_f64_e32 v[40:41], v[40:41], v[46:47]
	v_mul_f64_e32 v[46:47], v[36:37], v[44:45]
	s_delay_alu instid0(VALU_DEP_1) | instskip(NEXT) | instid1(VALU_DEP_1)
	v_fma_f64 v[56:57], v[36:37], v[44:45], -v[46:47]
	v_fmac_f64_e32 v[56:57], v[36:37], v[40:41]
	s_delay_alu instid0(VALU_DEP_1) | instskip(NEXT) | instid1(VALU_DEP_1)
	v_fmac_f64_e32 v[56:57], v[38:39], v[44:45]
	v_add_f64_e32 v[36:37], v[46:47], v[56:57]
	s_delay_alu instid0(VALU_DEP_1) | instskip(SKIP_1) | instid1(VALU_DEP_2)
	v_add_f64_e64 v[38:39], v[36:37], -v[46:47]
	v_add_f64_e32 v[40:41], v[52:53], v[36:37]
	v_add_f64_e64 v[38:39], v[56:57], -v[38:39]
	s_delay_alu instid0(VALU_DEP_2) | instskip(NEXT) | instid1(VALU_DEP_2)
	v_add_f64_e64 v[44:45], v[40:41], -v[52:53]
	v_add_f64_e32 v[38:39], v[54:55], v[38:39]
	s_delay_alu instid0(VALU_DEP_2) | instskip(NEXT) | instid1(VALU_DEP_1)
	v_add_f64_e64 v[36:37], v[36:37], -v[44:45]
	v_add_f64_e32 v[36:37], v[38:39], v[36:37]
	s_delay_alu instid0(VALU_DEP_1) | instskip(NEXT) | instid1(VALU_DEP_1)
	v_add_f64_e32 v[38:39], v[40:41], v[36:37]
	v_add_f64_e64 v[40:41], v[38:39], -v[40:41]
	s_delay_alu instid0(VALU_DEP_1) | instskip(SKIP_1) | instid1(VALU_DEP_1)
	v_add_f64_e64 v[36:37], v[36:37], -v[40:41]
	v_add_f64_e32 v[40:41], v[48:49], v[38:39]
	v_add_f64_e64 v[44:45], v[40:41], -v[48:49]
	s_delay_alu instid0(VALU_DEP_1) | instskip(SKIP_2) | instid1(VALU_DEP_3)
	v_add_f64_e64 v[46:47], v[40:41], -v[44:45]
	v_add_f64_e64 v[38:39], v[38:39], -v[44:45]
	v_add_f64_e32 v[44:45], v[50:51], v[36:37]
	v_add_f64_e64 v[46:47], v[48:49], -v[46:47]
	s_delay_alu instid0(VALU_DEP_1) | instskip(NEXT) | instid1(VALU_DEP_3)
	v_add_f64_e32 v[38:39], v[38:39], v[46:47]
	v_add_f64_e64 v[46:47], v[44:45], -v[50:51]
	s_delay_alu instid0(VALU_DEP_2) | instskip(NEXT) | instid1(VALU_DEP_2)
	v_add_f64_e32 v[38:39], v[44:45], v[38:39]
	v_add_f64_e64 v[48:49], v[44:45], -v[46:47]
	v_add_f64_e64 v[36:37], v[36:37], -v[46:47]
	s_delay_alu instid0(VALU_DEP_3) | instskip(NEXT) | instid1(VALU_DEP_3)
	v_add_f64_e32 v[44:45], v[40:41], v[38:39]
	v_add_f64_e64 v[48:49], v[50:51], -v[48:49]
	s_delay_alu instid0(VALU_DEP_2) | instskip(NEXT) | instid1(VALU_DEP_2)
	v_add_f64_e64 v[40:41], v[44:45], -v[40:41]
	v_add_f64_e32 v[36:37], v[36:37], v[48:49]
	s_delay_alu instid0(VALU_DEP_2) | instskip(NEXT) | instid1(VALU_DEP_1)
	v_add_f64_e64 v[38:39], v[38:39], -v[40:41]
	v_add_f64_e32 v[36:37], v[36:37], v[38:39]
	s_delay_alu instid0(VALU_DEP_1) | instskip(NEXT) | instid1(VALU_DEP_1)
	v_add_f64_e32 v[38:39], v[44:45], v[36:37]
	v_add_f64_e64 v[40:41], v[38:39], -v[44:45]
	s_delay_alu instid0(VALU_DEP_1) | instskip(SKIP_1) | instid1(VALU_DEP_1)
	v_add_f64_e64 v[36:37], v[36:37], -v[40:41]
	v_mul_f64_e32 v[40:41], v[18:19], v[38:39]
	v_fma_f64 v[38:39], v[18:19], v[38:39], -v[40:41]
	v_cmp_class_f64_e64 vcc_lo, v[40:41], 0x204
	s_delay_alu instid0(VALU_DEP_2) | instskip(NEXT) | instid1(VALU_DEP_1)
	v_fmac_f64_e32 v[38:39], v[18:19], v[36:37]
	v_add_f64_e32 v[36:37], v[40:41], v[38:39]
	s_delay_alu instid0(VALU_DEP_1) | instskip(SKIP_1) | instid1(VALU_DEP_1)
	v_add_f64_e64 v[44:45], v[36:37], -v[40:41]
	v_dual_cndmask_b32 v37, v37, v41 :: v_dual_cndmask_b32 v36, v36, v40
	v_mul_f64_e32 v[40:41], 0x3ff71547652b82fe, v[36:37]
	v_cmp_neq_f64_e64 vcc_lo, 0x7ff00000, |v[36:37]|
	v_cmp_ngt_f64_e64 s0, 0xc090cc00, v[36:37]
	v_add_f64_e64 v[38:39], v[38:39], -v[44:45]
	s_delay_alu instid0(VALU_DEP_4) | instskip(NEXT) | instid1(VALU_DEP_2)
	v_rndne_f64_e32 v[40:41], v[40:41]
	v_dual_cndmask_b32 v39, 0, v39 :: v_dual_cndmask_b32 v38, 0, v38
	v_cmp_nlt_f64_e32 vcc_lo, 0x40900000, v[36:37]
	s_delay_alu instid0(VALU_DEP_3) | instskip(NEXT) | instid1(VALU_DEP_1)
	v_fmamk_f64 v[44:45], v[40:41], 0xbfe62e42fefa39ef, v[36:37]
	v_fmac_f64_e32 v[44:45], 0xbc7abc9e3b39803f, v[40:41]
	v_cvt_i32_f64_e32 v40, v[40:41]
	s_delay_alu instid0(VALU_DEP_2) | instskip(NEXT) | instid1(VALU_DEP_1)
	v_fmamk_f64 v[46:47], v[44:45], 0x3e5ade156a5dcb37, v[16:17]
	v_fmaak_f64 v[46:47], v[44:45], v[46:47], 0x3ec71dee623fde64
	s_delay_alu instid0(VALU_DEP_1) | instskip(NEXT) | instid1(VALU_DEP_1)
	v_fmaak_f64 v[46:47], v[44:45], v[46:47], 0x3efa01997c89e6b0
	v_fmaak_f64 v[46:47], v[44:45], v[46:47], 0x3f2a01a014761f6e
	s_delay_alu instid0(VALU_DEP_1) | instskip(NEXT) | instid1(VALU_DEP_1)
	v_fmaak_f64 v[46:47], v[44:45], v[46:47], 0x3f56c16c1852b7b0
	;; [unrolled: 3-line block ×4, first 2 shown]
	v_fma_f64 v[46:47], v[44:45], v[46:47], 1.0
	s_delay_alu instid0(VALU_DEP_1) | instskip(NEXT) | instid1(VALU_DEP_1)
	v_fma_f64 v[44:45], v[44:45], v[46:47], 1.0
	v_ldexp_f64 v[40:41], v[44:45], v40
	s_delay_alu instid0(VALU_DEP_1)
	v_cndmask_b32_e32 v41, 0x7ff00000, v41, vcc_lo
	s_and_b32 vcc_lo, s0, vcc_lo
	s_delay_alu instid0(VALU_DEP_1) | instid1(SALU_CYCLE_1)
	v_dual_cndmask_b32 v36, 0, v40, vcc_lo :: v_dual_cndmask_b32 v37, 0, v41, s0
	s_delay_alu instid0(VALU_DEP_1) | instskip(SKIP_1) | instid1(VALU_DEP_2)
	v_fma_f64 v[38:39], v[36:37], v[38:39], v[36:37]
	v_cmp_class_f64_e64 vcc_lo, v[36:37], 0x204
	v_dual_cndmask_b32 v40, v38, v36 :: v_dual_cndmask_b32 v41, v39, v37
	v_trunc_f64_e32 v[36:37], v[18:19]
	s_delay_alu instid0(VALU_DEP_1) | instskip(SKIP_1) | instid1(VALU_DEP_1)
	v_cmp_eq_f64_e32 vcc_lo, v[36:37], v[18:19]
	v_mul_f64_e32 v[36:37], 0.5, v[18:19]
	v_trunc_f64_e32 v[38:39], v[36:37]
	s_delay_alu instid0(VALU_DEP_1) | instskip(SKIP_1) | instid1(VALU_DEP_1)
	v_cmp_neq_f64_e64 s0, v[38:39], v[36:37]
	v_cndmask_b32_e32 v37, 0, v40, vcc_lo
	v_cndmask_b32_e64 v37, v40, v37, s1
	s_and_b32 s0, vcc_lo, s0
	s_delay_alu instid0(SALU_CYCLE_1) | instskip(SKIP_1) | instid1(VALU_DEP_2)
	v_cndmask_b32_e64 v19, 0x3ff00000, v35, s0
	v_cndmask_b32_e64 v38, 0, v35, s0
	v_bfi_b32 v19, 0x7fffffff, v41, v19
	s_delay_alu instid0(VALU_DEP_1) | instskip(SKIP_1) | instid1(VALU_DEP_2)
	v_cndmask_b32_e32 v36, 0x7ff80000, v19, vcc_lo
	v_cmp_eq_f64_e32 vcc_lo, 0, v[34:35]
	v_cndmask_b32_e64 v19, v19, v36, s1
	v_cmp_class_f64_e64 s1, v[34:35], 0x204
	v_cndmask_b32_e64 v36, 0x7ff00000, 0, vcc_lo
	s_or_b32 s1, vcc_lo, s1
	v_cmp_o_f64_e32 vcc_lo, v[34:35], v[34:35]
	s_delay_alu instid0(VALU_DEP_2) | instskip(NEXT) | instid1(VALU_DEP_1)
	v_bfi_b32 v36, 0x7fffffff, v36, v38
	v_cndmask_b32_e64 v19, v19, v36, s1
	v_cndmask_b32_e64 v36, v37, 0, s1
	v_cmp_gt_f64_e64 s1, 0, v[28:29]
	s_delay_alu instid0(VALU_DEP_2) | instskip(NEXT) | instid1(VALU_DEP_4)
	v_cndmask_b32_e32 v34, 0, v36, vcc_lo
	v_cndmask_b32_e32 v35, 0x7ff80000, v19, vcc_lo
	v_cmp_eq_f64_e32 vcc_lo, 1.0, v[28:29]
	s_delay_alu instid0(VALU_DEP_2) | instskip(SKIP_2) | instid1(VALU_DEP_3)
	v_add_f64_e32 v[32:33], v[32:33], v[34:35]
	v_fma_f64 v[34:35], -s[16:17], v[30:31], 1.0
	v_cndmask_b32_e64 v19, 2.0, 0x3ff00000, vcc_lo
	v_fma_f64 v[32:33], 2.0, v[32:33], v[8:9]
	s_delay_alu instid0(VALU_DEP_3) | instskip(NEXT) | instid1(VALU_DEP_2)
	v_mul_f64_e32 v[34:35], v[20:21], v[34:35]
	v_add_f64_e32 v[32:33], v[10:11], v[32:33]
	s_delay_alu instid0(VALU_DEP_1) | instskip(NEXT) | instid1(VALU_DEP_1)
	v_mul_f64_e32 v[32:33], v[34:35], v[32:33]
	v_fmac_f64_e32 v[32:33], v[20:21], v[30:31]
	v_frexp_exp_i32_f64_e32 v30, v[28:29]
	s_delay_alu instid0(VALU_DEP_2) | instskip(SKIP_1) | instid1(VALU_DEP_1)
	v_fma_f64 v[20:21], -v[12:13], v[32:33], v[20:21]
	v_frexp_mant_f64_e64 v[32:33], |v[28:29]|
	v_cmp_gt_f64_e32 vcc_lo, s[6:7], v[32:33]
	v_cndmask_b32_e64 v31, 0, 1, vcc_lo
	v_subrev_co_ci_u32_e64 v43, null, 0, v30, vcc_lo
	s_delay_alu instid0(VALU_DEP_2) | instskip(NEXT) | instid1(VALU_DEP_1)
	v_ldexp_f64 v[32:33], v[32:33], v31
	v_add_f64_e32 v[36:37], 1.0, v[32:33]
	v_add_f64_e32 v[34:35], -1.0, v[32:33]
	s_delay_alu instid0(VALU_DEP_2) | instskip(NEXT) | instid1(VALU_DEP_1)
	v_add_f64_e32 v[30:31], -1.0, v[36:37]
	v_add_f64_e64 v[32:33], v[32:33], -v[30:31]
	v_rcp_f64_e32 v[30:31], v[36:37]
	v_nop
	s_delay_alu instid0(TRANS32_DEP_1) | instskip(NEXT) | instid1(VALU_DEP_1)
	v_fma_f64 v[38:39], -v[36:37], v[30:31], 1.0
	v_fmac_f64_e32 v[30:31], v[38:39], v[30:31]
	s_delay_alu instid0(VALU_DEP_1) | instskip(NEXT) | instid1(VALU_DEP_1)
	v_fma_f64 v[38:39], -v[36:37], v[30:31], 1.0
	v_fmac_f64_e32 v[30:31], v[38:39], v[30:31]
	s_delay_alu instid0(VALU_DEP_1) | instskip(NEXT) | instid1(VALU_DEP_1)
	v_mul_f64_e32 v[38:39], v[34:35], v[30:31]
	v_mul_f64_e32 v[40:41], v[36:37], v[38:39]
	s_delay_alu instid0(VALU_DEP_1) | instskip(NEXT) | instid1(VALU_DEP_1)
	v_fma_f64 v[36:37], v[38:39], v[36:37], -v[40:41]
	v_fmac_f64_e32 v[36:37], v[38:39], v[32:33]
	s_delay_alu instid0(VALU_DEP_1) | instskip(NEXT) | instid1(VALU_DEP_1)
	v_add_f64_e32 v[32:33], v[40:41], v[36:37]
	v_add_f64_e64 v[44:45], v[34:35], -v[32:33]
	v_add_f64_e64 v[40:41], v[32:33], -v[40:41]
	s_delay_alu instid0(VALU_DEP_2) | instskip(NEXT) | instid1(VALU_DEP_1)
	v_add_f64_e64 v[34:35], v[34:35], -v[44:45]
	v_add_f64_e64 v[32:33], v[34:35], -v[32:33]
	s_delay_alu instid0(VALU_DEP_3) | instskip(SKIP_1) | instid1(VALU_DEP_2)
	v_add_f64_e64 v[34:35], v[40:41], -v[36:37]
	v_cvt_f64_i32_e32 v[40:41], v43
	v_add_f64_e32 v[32:33], v[34:35], v[32:33]
	s_delay_alu instid0(VALU_DEP_1) | instskip(NEXT) | instid1(VALU_DEP_3)
	v_add_f64_e32 v[32:33], v[44:45], v[32:33]
	v_mul_f64_e32 v[44:45], 0x3fe62e42fefa39ef, v[40:41]
	s_delay_alu instid0(VALU_DEP_2) | instskip(NEXT) | instid1(VALU_DEP_2)
	v_mul_f64_e32 v[30:31], v[30:31], v[32:33]
	v_fma_f64 v[46:47], v[40:41], s[8:9], -v[44:45]
	s_delay_alu instid0(VALU_DEP_2) | instskip(NEXT) | instid1(VALU_DEP_2)
	v_add_f64_e32 v[32:33], v[38:39], v[30:31]
	v_fmac_f64_e32 v[46:47], 0x3c7abc9e3b39803f, v[40:41]
	s_delay_alu instid0(VALU_DEP_2) | instskip(NEXT) | instid1(VALU_DEP_2)
	v_add_f64_e64 v[34:35], v[32:33], -v[38:39]
	v_add_f64_e32 v[40:41], v[44:45], v[46:47]
	s_delay_alu instid0(VALU_DEP_2) | instskip(SKIP_1) | instid1(VALU_DEP_3)
	v_add_f64_e64 v[30:31], v[30:31], -v[34:35]
	v_mul_f64_e32 v[34:35], v[32:33], v[32:33]
	v_add_f64_e64 v[44:45], v[40:41], -v[44:45]
	s_delay_alu instid0(VALU_DEP_3) | instskip(NEXT) | instid1(VALU_DEP_3)
	v_add_f64_e32 v[38:39], v[30:31], v[30:31]
	v_fma_f64 v[36:37], v[32:33], v[32:33], -v[34:35]
	v_ldexp_f64 v[48:49], v[30:31], 1
	s_delay_alu instid0(VALU_DEP_4) | instskip(SKIP_1) | instid1(VALU_DEP_4)
	v_add_f64_e64 v[44:45], v[46:47], -v[44:45]
	v_ldexp_f64 v[46:47], v[32:33], 1
	v_fmac_f64_e32 v[36:37], v[32:33], v[38:39]
	s_delay_alu instid0(VALU_DEP_1) | instskip(NEXT) | instid1(VALU_DEP_1)
	v_add_f64_e32 v[38:39], v[34:35], v[36:37]
	v_mul_f64_e32 v[50:51], v[32:33], v[38:39]
	v_add_f64_e64 v[34:35], v[38:39], -v[34:35]
	s_delay_alu instid0(VALU_DEP_2) | instskip(NEXT) | instid1(VALU_DEP_2)
	v_fma_f64 v[52:53], v[38:39], v[32:33], -v[50:51]
	v_add_f64_e64 v[34:35], v[36:37], -v[34:35]
	v_fmamk_f64 v[36:37], v[38:39], 0x3fbdee674222de17, v[14:15]
	s_delay_alu instid0(VALU_DEP_1) | instskip(NEXT) | instid1(VALU_DEP_1)
	v_fmaak_f64 v[36:37], v[38:39], v[36:37], 0x3fbe25e43abe935a
	v_fmaak_f64 v[36:37], v[38:39], v[36:37], 0x3fc110ef47e6c9c2
	s_delay_alu instid0(VALU_DEP_1) | instskip(NEXT) | instid1(VALU_DEP_1)
	v_fmaak_f64 v[36:37], v[38:39], v[36:37], 0x3fc3b13bcfa74449
	v_fmaak_f64 v[36:37], v[38:39], v[36:37], 0x3fc745d171bf3c30
	v_fmac_f64_e32 v[52:53], v[38:39], v[30:31]
	s_delay_alu instid0(VALU_DEP_2) | instskip(NEXT) | instid1(VALU_DEP_1)
	v_fmaak_f64 v[36:37], v[38:39], v[36:37], 0x3fcc71c71c7792ce
	v_fmaak_f64 v[36:37], v[38:39], v[36:37], 0x3fd24924924920da
	s_delay_alu instid0(VALU_DEP_1) | instskip(NEXT) | instid1(VALU_DEP_4)
	v_fmaak_f64 v[36:37], v[38:39], v[36:37], 0x3fd999999999999c
	v_fmac_f64_e32 v[52:53], v[34:35], v[32:33]
	s_delay_alu instid0(VALU_DEP_1) | instskip(NEXT) | instid1(VALU_DEP_1)
	v_add_f64_e32 v[30:31], v[50:51], v[52:53]
	v_add_f64_e64 v[32:33], v[30:31], -v[50:51]
	s_delay_alu instid0(VALU_DEP_4) | instskip(NEXT) | instid1(VALU_DEP_2)
	v_mul_f64_e32 v[50:51], v[38:39], v[36:37]
	v_add_f64_e64 v[32:33], v[52:53], -v[32:33]
	s_delay_alu instid0(VALU_DEP_2) | instskip(NEXT) | instid1(VALU_DEP_1)
	v_fma_f64 v[38:39], v[38:39], v[36:37], -v[50:51]
	v_fmac_f64_e32 v[38:39], v[34:35], v[36:37]
	s_delay_alu instid0(VALU_DEP_1) | instskip(NEXT) | instid1(VALU_DEP_1)
	v_add_f64_e32 v[34:35], v[50:51], v[38:39]
	v_add_f64_e64 v[36:37], v[34:35], -v[50:51]
	s_delay_alu instid0(VALU_DEP_1) | instskip(SKIP_1) | instid1(VALU_DEP_2)
	v_add_f64_e64 v[36:37], v[38:39], -v[36:37]
	v_add_f64_e32 v[38:39], 0x3fe5555555555555, v[34:35]
	v_add_f64_e32 v[36:37], 0x3c8543b0d5df274d, v[36:37]
	s_delay_alu instid0(VALU_DEP_2) | instskip(NEXT) | instid1(VALU_DEP_1)
	v_add_f64_e32 v[50:51], 0xbfe5555555555555, v[38:39]
	v_add_f64_e64 v[34:35], v[34:35], -v[50:51]
	s_delay_alu instid0(VALU_DEP_1) | instskip(NEXT) | instid1(VALU_DEP_1)
	v_add_f64_e32 v[34:35], v[36:37], v[34:35]
	v_add_f64_e32 v[36:37], v[38:39], v[34:35]
	s_delay_alu instid0(VALU_DEP_1) | instskip(NEXT) | instid1(VALU_DEP_1)
	v_add_f64_e64 v[38:39], v[38:39], -v[36:37]
	v_add_f64_e32 v[34:35], v[34:35], v[38:39]
	v_mul_f64_e32 v[38:39], v[30:31], v[36:37]
	s_delay_alu instid0(VALU_DEP_1) | instskip(NEXT) | instid1(VALU_DEP_1)
	v_fma_f64 v[50:51], v[30:31], v[36:37], -v[38:39]
	v_fmac_f64_e32 v[50:51], v[30:31], v[34:35]
	s_delay_alu instid0(VALU_DEP_1) | instskip(NEXT) | instid1(VALU_DEP_1)
	v_fmac_f64_e32 v[50:51], v[32:33], v[36:37]
	v_add_f64_e32 v[30:31], v[38:39], v[50:51]
	s_delay_alu instid0(VALU_DEP_1) | instskip(SKIP_1) | instid1(VALU_DEP_2)
	v_add_f64_e64 v[32:33], v[30:31], -v[38:39]
	v_add_f64_e32 v[34:35], v[46:47], v[30:31]
	v_add_f64_e64 v[32:33], v[50:51], -v[32:33]
	s_delay_alu instid0(VALU_DEP_2) | instskip(NEXT) | instid1(VALU_DEP_2)
	v_add_f64_e64 v[36:37], v[34:35], -v[46:47]
	v_add_f64_e32 v[32:33], v[48:49], v[32:33]
	s_delay_alu instid0(VALU_DEP_2) | instskip(NEXT) | instid1(VALU_DEP_1)
	v_add_f64_e64 v[30:31], v[30:31], -v[36:37]
	v_add_f64_e32 v[30:31], v[32:33], v[30:31]
	s_delay_alu instid0(VALU_DEP_1) | instskip(NEXT) | instid1(VALU_DEP_1)
	v_add_f64_e32 v[32:33], v[34:35], v[30:31]
	v_add_f64_e64 v[34:35], v[32:33], -v[34:35]
	s_delay_alu instid0(VALU_DEP_1) | instskip(SKIP_1) | instid1(VALU_DEP_1)
	v_add_f64_e64 v[30:31], v[30:31], -v[34:35]
	v_add_f64_e32 v[34:35], v[40:41], v[32:33]
	v_add_f64_e64 v[36:37], v[34:35], -v[40:41]
	s_delay_alu instid0(VALU_DEP_1) | instskip(SKIP_2) | instid1(VALU_DEP_3)
	v_add_f64_e64 v[38:39], v[34:35], -v[36:37]
	v_add_f64_e64 v[32:33], v[32:33], -v[36:37]
	v_add_f64_e32 v[36:37], v[44:45], v[30:31]
	v_add_f64_e64 v[38:39], v[40:41], -v[38:39]
	s_delay_alu instid0(VALU_DEP_1) | instskip(NEXT) | instid1(VALU_DEP_3)
	v_add_f64_e32 v[32:33], v[32:33], v[38:39]
	v_add_f64_e64 v[38:39], v[36:37], -v[44:45]
	s_delay_alu instid0(VALU_DEP_2) | instskip(NEXT) | instid1(VALU_DEP_2)
	v_add_f64_e32 v[32:33], v[36:37], v[32:33]
	v_add_f64_e64 v[40:41], v[36:37], -v[38:39]
	v_add_f64_e64 v[30:31], v[30:31], -v[38:39]
	s_delay_alu instid0(VALU_DEP_3) | instskip(NEXT) | instid1(VALU_DEP_3)
	v_add_f64_e32 v[36:37], v[34:35], v[32:33]
	v_add_f64_e64 v[40:41], v[44:45], -v[40:41]
	s_delay_alu instid0(VALU_DEP_2) | instskip(NEXT) | instid1(VALU_DEP_2)
	v_add_f64_e64 v[34:35], v[36:37], -v[34:35]
	v_add_f64_e32 v[30:31], v[30:31], v[40:41]
	s_delay_alu instid0(VALU_DEP_2) | instskip(NEXT) | instid1(VALU_DEP_1)
	v_add_f64_e64 v[32:33], v[32:33], -v[34:35]
	v_add_f64_e32 v[30:31], v[30:31], v[32:33]
	s_delay_alu instid0(VALU_DEP_1) | instskip(NEXT) | instid1(VALU_DEP_1)
	v_add_f64_e32 v[32:33], v[36:37], v[30:31]
	v_add_f64_e64 v[34:35], v[32:33], -v[36:37]
	s_delay_alu instid0(VALU_DEP_1) | instskip(SKIP_1) | instid1(VALU_DEP_1)
	v_add_f64_e64 v[30:31], v[30:31], -v[34:35]
	v_mul_f64_e32 v[34:35], v[18:19], v[32:33]
	v_fma_f64 v[32:33], v[18:19], v[32:33], -v[34:35]
	v_cmp_class_f64_e64 vcc_lo, v[34:35], 0x204
	s_delay_alu instid0(VALU_DEP_2) | instskip(NEXT) | instid1(VALU_DEP_1)
	v_fmac_f64_e32 v[32:33], v[18:19], v[30:31]
	v_add_f64_e32 v[30:31], v[34:35], v[32:33]
	s_delay_alu instid0(VALU_DEP_1) | instskip(SKIP_1) | instid1(VALU_DEP_1)
	v_add_f64_e64 v[36:37], v[30:31], -v[34:35]
	v_dual_cndmask_b32 v31, v31, v35 :: v_dual_cndmask_b32 v30, v30, v34
	v_mul_f64_e32 v[34:35], 0x3ff71547652b82fe, v[30:31]
	v_cmp_neq_f64_e64 vcc_lo, 0x7ff00000, |v[30:31]|
	v_cmp_ngt_f64_e64 s0, 0xc090cc00, v[30:31]
	v_add_f64_e64 v[32:33], v[32:33], -v[36:37]
	s_delay_alu instid0(VALU_DEP_4) | instskip(NEXT) | instid1(VALU_DEP_2)
	v_rndne_f64_e32 v[34:35], v[34:35]
	v_dual_cndmask_b32 v33, 0, v33 :: v_dual_cndmask_b32 v32, 0, v32
	v_cmp_nlt_f64_e32 vcc_lo, 0x40900000, v[30:31]
	s_delay_alu instid0(VALU_DEP_3) | instskip(NEXT) | instid1(VALU_DEP_1)
	v_fmamk_f64 v[36:37], v[34:35], 0xbfe62e42fefa39ef, v[30:31]
	v_fmac_f64_e32 v[36:37], 0xbc7abc9e3b39803f, v[34:35]
	v_cvt_i32_f64_e32 v34, v[34:35]
	s_delay_alu instid0(VALU_DEP_2) | instskip(NEXT) | instid1(VALU_DEP_1)
	v_fmamk_f64 v[38:39], v[36:37], 0x3e5ade156a5dcb37, v[16:17]
	v_fmaak_f64 v[38:39], v[36:37], v[38:39], 0x3ec71dee623fde64
	s_delay_alu instid0(VALU_DEP_1) | instskip(NEXT) | instid1(VALU_DEP_1)
	v_fmaak_f64 v[38:39], v[36:37], v[38:39], 0x3efa01997c89e6b0
	v_fmaak_f64 v[38:39], v[36:37], v[38:39], 0x3f2a01a014761f6e
	s_delay_alu instid0(VALU_DEP_1) | instskip(NEXT) | instid1(VALU_DEP_1)
	v_fmaak_f64 v[38:39], v[36:37], v[38:39], 0x3f56c16c1852b7b0
	;; [unrolled: 3-line block ×4, first 2 shown]
	v_fma_f64 v[38:39], v[36:37], v[38:39], 1.0
	s_delay_alu instid0(VALU_DEP_1) | instskip(NEXT) | instid1(VALU_DEP_1)
	v_fma_f64 v[36:37], v[36:37], v[38:39], 1.0
	v_ldexp_f64 v[34:35], v[36:37], v34
	s_delay_alu instid0(VALU_DEP_1)
	v_cndmask_b32_e32 v35, 0x7ff00000, v35, vcc_lo
	s_and_b32 vcc_lo, s0, vcc_lo
	s_delay_alu instid0(VALU_DEP_1) | instid1(SALU_CYCLE_1)
	v_dual_cndmask_b32 v30, 0, v34, vcc_lo :: v_dual_cndmask_b32 v31, 0, v35, s0
	s_delay_alu instid0(VALU_DEP_1) | instskip(SKIP_1) | instid1(VALU_DEP_2)
	v_fma_f64 v[32:33], v[30:31], v[32:33], v[30:31]
	v_cmp_class_f64_e64 vcc_lo, v[30:31], 0x204
	v_dual_cndmask_b32 v34, v32, v30 :: v_dual_cndmask_b32 v35, v33, v31
	v_trunc_f64_e32 v[30:31], v[18:19]
	s_delay_alu instid0(VALU_DEP_1) | instskip(SKIP_1) | instid1(VALU_DEP_1)
	v_cmp_eq_f64_e32 vcc_lo, v[30:31], v[18:19]
	v_mul_f64_e32 v[30:31], 0.5, v[18:19]
	v_trunc_f64_e32 v[32:33], v[30:31]
	s_delay_alu instid0(VALU_DEP_1) | instskip(SKIP_1) | instid1(VALU_DEP_1)
	v_cmp_neq_f64_e64 s0, v[32:33], v[30:31]
	v_cndmask_b32_e32 v31, 0, v34, vcc_lo
	v_cndmask_b32_e64 v31, v34, v31, s1
	s_and_b32 s0, vcc_lo, s0
	s_delay_alu instid0(SALU_CYCLE_1) | instskip(SKIP_1) | instid1(VALU_DEP_2)
	v_cndmask_b32_e64 v19, 0x3ff00000, v29, s0
	v_cndmask_b32_e64 v32, 0, v29, s0
	v_bfi_b32 v19, 0x7fffffff, v35, v19
	s_delay_alu instid0(VALU_DEP_1) | instskip(SKIP_1) | instid1(VALU_DEP_2)
	v_cndmask_b32_e32 v30, 0x7ff80000, v19, vcc_lo
	v_cmp_eq_f64_e32 vcc_lo, 0, v[28:29]
	v_cndmask_b32_e64 v19, v19, v30, s1
	v_cmp_class_f64_e64 s1, v[28:29], 0x204
	v_cndmask_b32_e64 v30, 0x7ff00000, 0, vcc_lo
	s_or_b32 s1, vcc_lo, s1
	v_cmp_o_f64_e32 vcc_lo, v[28:29], v[28:29]
	s_delay_alu instid0(VALU_DEP_2) | instskip(SKIP_1) | instid1(VALU_DEP_2)
	v_bfi_b32 v30, 0x7fffffff, v30, v32
	v_frexp_exp_i32_f64_e32 v32, v[26:27]
	v_cndmask_b32_e64 v19, v19, v30, s1
	v_cndmask_b32_e64 v30, v31, 0, s1
	v_cmp_gt_f64_e64 s1, 0, v[26:27]
	s_delay_alu instid0(VALU_DEP_2) | instskip(NEXT) | instid1(VALU_DEP_4)
	v_cndmask_b32_e32 v28, 0, v30, vcc_lo
	v_cndmask_b32_e32 v29, 0x7ff80000, v19, vcc_lo
	v_cmp_eq_f64_e32 vcc_lo, 1.0, v[26:27]
	v_frexp_mant_f64_e64 v[30:31], |v[26:27]|
	v_cndmask_b32_e64 v19, 2.0, 0x3ff00000, vcc_lo
	s_delay_alu instid0(VALU_DEP_2) | instskip(SKIP_2) | instid1(VALU_DEP_2)
	v_cmp_gt_f64_e32 vcc_lo, s[6:7], v[30:31]
	v_cndmask_b32_e64 v33, 0, 1, vcc_lo
	v_subrev_co_ci_u32_e64 v43, null, 0, v32, vcc_lo
	v_ldexp_f64 v[30:31], v[30:31], v33
	s_delay_alu instid0(VALU_DEP_1) | instskip(SKIP_1) | instid1(VALU_DEP_2)
	v_add_f64_e32 v[34:35], 1.0, v[30:31]
	v_add_f64_e32 v[32:33], -1.0, v[30:31]
	v_add_f64_e32 v[36:37], -1.0, v[34:35]
	s_delay_alu instid0(VALU_DEP_1) | instskip(SKIP_2) | instid1(TRANS32_DEP_1)
	v_add_f64_e64 v[30:31], v[30:31], -v[36:37]
	v_rcp_f64_e32 v[36:37], v[34:35]
	v_nop
	v_fma_f64 v[38:39], -v[34:35], v[36:37], 1.0
	s_delay_alu instid0(VALU_DEP_1) | instskip(NEXT) | instid1(VALU_DEP_1)
	v_fmac_f64_e32 v[36:37], v[38:39], v[36:37]
	v_fma_f64 v[38:39], -v[34:35], v[36:37], 1.0
	s_delay_alu instid0(VALU_DEP_1) | instskip(NEXT) | instid1(VALU_DEP_1)
	v_fmac_f64_e32 v[36:37], v[38:39], v[36:37]
	v_mul_f64_e32 v[38:39], v[32:33], v[36:37]
	s_delay_alu instid0(VALU_DEP_1) | instskip(NEXT) | instid1(VALU_DEP_1)
	v_mul_f64_e32 v[40:41], v[34:35], v[38:39]
	v_fma_f64 v[34:35], v[38:39], v[34:35], -v[40:41]
	s_delay_alu instid0(VALU_DEP_1) | instskip(NEXT) | instid1(VALU_DEP_1)
	v_fmac_f64_e32 v[34:35], v[38:39], v[30:31]
	v_add_f64_e32 v[30:31], v[40:41], v[34:35]
	s_delay_alu instid0(VALU_DEP_1) | instskip(SKIP_1) | instid1(VALU_DEP_2)
	v_add_f64_e64 v[44:45], v[32:33], -v[30:31]
	v_add_f64_e64 v[40:41], v[30:31], -v[40:41]
	;; [unrolled: 1-line block ×3, first 2 shown]
	s_delay_alu instid0(VALU_DEP_1) | instskip(NEXT) | instid1(VALU_DEP_3)
	v_add_f64_e64 v[30:31], v[32:33], -v[30:31]
	v_add_f64_e64 v[32:33], v[40:41], -v[34:35]
	s_delay_alu instid0(VALU_DEP_1) | instskip(NEXT) | instid1(VALU_DEP_1)
	v_add_f64_e32 v[30:31], v[32:33], v[30:31]
	v_add_f64_e32 v[30:31], v[44:45], v[30:31]
	s_delay_alu instid0(VALU_DEP_1) | instskip(NEXT) | instid1(VALU_DEP_1)
	v_mul_f64_e32 v[30:31], v[36:37], v[30:31]
	v_add_f64_e32 v[40:41], v[38:39], v[30:31]
	s_delay_alu instid0(VALU_DEP_1) | instskip(NEXT) | instid1(VALU_DEP_1)
	v_add_f64_e64 v[32:33], v[40:41], -v[38:39]
	v_add_f64_e64 v[38:39], v[30:31], -v[32:33]
	v_mul_f64_e32 v[30:31], v[40:41], v[40:41]
	s_delay_alu instid0(VALU_DEP_2) | instskip(NEXT) | instid1(VALU_DEP_2)
	v_add_f64_e32 v[34:35], v[38:39], v[38:39]
	v_fma_f64 v[32:33], v[40:41], v[40:41], -v[30:31]
	s_delay_alu instid0(VALU_DEP_1) | instskip(NEXT) | instid1(VALU_DEP_1)
	v_fmac_f64_e32 v[32:33], v[40:41], v[34:35]
	v_add_f64_e32 v[44:45], v[30:31], v[32:33]
	s_delay_alu instid0(VALU_DEP_1) | instskip(SKIP_1) | instid1(VALU_DEP_2)
	v_add_f64_e64 v[30:31], v[44:45], -v[30:31]
	v_mul_f64_e32 v[50:51], v[40:41], v[44:45]
	v_add_f64_e64 v[46:47], v[32:33], -v[30:31]
	v_fmamk_f64 v[30:31], v[44:45], 0x3fbdee674222de17, v[14:15]
	s_delay_alu instid0(VALU_DEP_3) | instskip(NEXT) | instid1(VALU_DEP_2)
	v_fma_f64 v[52:53], v[44:45], v[40:41], -v[50:51]
	v_fmaak_f64 v[30:31], v[44:45], v[30:31], 0x3fbe25e43abe935a
	s_delay_alu instid0(VALU_DEP_1) | instskip(NEXT) | instid1(VALU_DEP_1)
	v_fmaak_f64 v[30:31], v[44:45], v[30:31], 0x3fc110ef47e6c9c2
	v_fmaak_f64 v[30:31], v[44:45], v[30:31], 0x3fc3b13bcfa74449
	s_delay_alu instid0(VALU_DEP_1) | instskip(SKIP_1) | instid1(VALU_DEP_2)
	v_fmaak_f64 v[30:31], v[44:45], v[30:31], 0x3fc745d171bf3c30
	v_fmac_f64_e32 v[52:53], v[44:45], v[38:39]
	v_fmaak_f64 v[30:31], v[44:45], v[30:31], 0x3fcc71c71c7792ce
	s_delay_alu instid0(VALU_DEP_1) | instskip(NEXT) | instid1(VALU_DEP_1)
	v_fmaak_f64 v[30:31], v[44:45], v[30:31], 0x3fd24924924920da
	v_fmaak_f64 v[48:49], v[44:45], v[30:31], 0x3fd999999999999c
	v_cvt_f64_i32_e32 v[30:31], v43
	v_fmac_f64_e32 v[52:53], v[46:47], v[40:41]
	s_delay_alu instid0(VALU_DEP_2) | instskip(NEXT) | instid1(VALU_DEP_2)
	v_mul_f64_e32 v[34:35], 0x3fe62e42fefa39ef, v[30:31]
	v_add_f64_e32 v[54:55], v[50:51], v[52:53]
	s_delay_alu instid0(VALU_DEP_2) | instskip(NEXT) | instid1(VALU_DEP_1)
	v_fma_f64 v[36:37], v[30:31], s[8:9], -v[34:35]
	v_fmac_f64_e32 v[36:37], 0x3c7abc9e3b39803f, v[30:31]
	s_delay_alu instid0(VALU_DEP_1) | instskip(NEXT) | instid1(VALU_DEP_1)
	v_add_f64_e32 v[32:33], v[34:35], v[36:37]
	v_add_f64_e64 v[30:31], v[32:33], -v[34:35]
	v_ldexp_f64 v[34:35], v[38:39], 1
	v_add_f64_e64 v[38:39], v[54:55], -v[50:51]
	s_delay_alu instid0(VALU_DEP_3) | instskip(SKIP_1) | instid1(VALU_DEP_3)
	v_add_f64_e64 v[30:31], v[36:37], -v[30:31]
	v_ldexp_f64 v[36:37], v[40:41], 1
	v_add_f64_e64 v[50:51], v[52:53], -v[38:39]
	v_mul_f64_e32 v[38:39], v[44:45], v[48:49]
	s_delay_alu instid0(VALU_DEP_1) | instskip(NEXT) | instid1(VALU_DEP_1)
	v_fma_f64 v[40:41], v[44:45], v[48:49], -v[38:39]
	v_fmac_f64_e32 v[40:41], v[46:47], v[48:49]
	s_delay_alu instid0(VALU_DEP_1) | instskip(NEXT) | instid1(VALU_DEP_1)
	v_add_f64_e32 v[44:45], v[38:39], v[40:41]
	v_add_f64_e64 v[38:39], v[44:45], -v[38:39]
	s_delay_alu instid0(VALU_DEP_1) | instskip(SKIP_1) | instid1(VALU_DEP_2)
	v_add_f64_e64 v[38:39], v[40:41], -v[38:39]
	v_add_f64_e32 v[40:41], 0x3fe5555555555555, v[44:45]
	v_add_f64_e32 v[38:39], 0x3c8543b0d5df274d, v[38:39]
	s_delay_alu instid0(VALU_DEP_2) | instskip(NEXT) | instid1(VALU_DEP_1)
	v_add_f64_e32 v[46:47], 0xbfe5555555555555, v[40:41]
	v_add_f64_e64 v[44:45], v[44:45], -v[46:47]
	s_delay_alu instid0(VALU_DEP_1) | instskip(NEXT) | instid1(VALU_DEP_1)
	v_add_f64_e32 v[38:39], v[38:39], v[44:45]
	v_add_f64_e32 v[44:45], v[40:41], v[38:39]
	s_delay_alu instid0(VALU_DEP_1) | instskip(NEXT) | instid1(VALU_DEP_1)
	v_add_f64_e64 v[40:41], v[40:41], -v[44:45]
	v_add_f64_e32 v[46:47], v[38:39], v[40:41]
	v_mul_f64_e32 v[38:39], v[54:55], v[44:45]
	s_delay_alu instid0(VALU_DEP_1) | instskip(NEXT) | instid1(VALU_DEP_1)
	v_fma_f64 v[40:41], v[54:55], v[44:45], -v[38:39]
	v_fmac_f64_e32 v[40:41], v[54:55], v[46:47]
	s_delay_alu instid0(VALU_DEP_1) | instskip(NEXT) | instid1(VALU_DEP_1)
	v_fmac_f64_e32 v[40:41], v[50:51], v[44:45]
	v_add_f64_e32 v[44:45], v[38:39], v[40:41]
	s_delay_alu instid0(VALU_DEP_1) | instskip(NEXT) | instid1(VALU_DEP_1)
	v_add_f64_e64 v[38:39], v[44:45], -v[38:39]
	v_add_f64_e64 v[38:39], v[40:41], -v[38:39]
	v_add_f64_e32 v[40:41], v[36:37], v[44:45]
	s_delay_alu instid0(VALU_DEP_2) | instskip(NEXT) | instid1(VALU_DEP_2)
	v_add_f64_e32 v[34:35], v[34:35], v[38:39]
	v_add_f64_e64 v[36:37], v[40:41], -v[36:37]
	s_delay_alu instid0(VALU_DEP_1) | instskip(NEXT) | instid1(VALU_DEP_1)
	v_add_f64_e64 v[36:37], v[44:45], -v[36:37]
	v_add_f64_e32 v[34:35], v[34:35], v[36:37]
	s_delay_alu instid0(VALU_DEP_1) | instskip(NEXT) | instid1(VALU_DEP_1)
	v_add_f64_e32 v[36:37], v[40:41], v[34:35]
	v_add_f64_e64 v[38:39], v[36:37], -v[40:41]
	s_delay_alu instid0(VALU_DEP_1) | instskip(SKIP_1) | instid1(VALU_DEP_1)
	v_add_f64_e64 v[34:35], v[34:35], -v[38:39]
	v_add_f64_e32 v[38:39], v[32:33], v[36:37]
	v_add_f64_e64 v[40:41], v[38:39], -v[32:33]
	s_delay_alu instid0(VALU_DEP_1) | instskip(SKIP_1) | instid1(VALU_DEP_2)
	v_add_f64_e64 v[44:45], v[38:39], -v[40:41]
	v_add_f64_e64 v[36:37], v[36:37], -v[40:41]
	;; [unrolled: 1-line block ×3, first 2 shown]
	s_delay_alu instid0(VALU_DEP_1) | instskip(SKIP_1) | instid1(VALU_DEP_1)
	v_add_f64_e32 v[32:33], v[36:37], v[32:33]
	v_add_f64_e32 v[36:37], v[30:31], v[34:35]
	v_add_f64_e64 v[40:41], v[36:37], -v[30:31]
	s_delay_alu instid0(VALU_DEP_3) | instskip(NEXT) | instid1(VALU_DEP_2)
	v_add_f64_e32 v[32:33], v[36:37], v[32:33]
	v_add_f64_e64 v[44:45], v[36:37], -v[40:41]
	v_add_f64_e64 v[34:35], v[34:35], -v[40:41]
	s_delay_alu instid0(VALU_DEP_2) | instskip(NEXT) | instid1(VALU_DEP_1)
	v_add_f64_e64 v[30:31], v[30:31], -v[44:45]
	v_add_f64_e32 v[30:31], v[34:35], v[30:31]
	v_add_f64_e32 v[34:35], v[38:39], v[32:33]
	s_delay_alu instid0(VALU_DEP_1) | instskip(NEXT) | instid1(VALU_DEP_1)
	v_add_f64_e64 v[36:37], v[34:35], -v[38:39]
	v_add_f64_e64 v[32:33], v[32:33], -v[36:37]
	s_delay_alu instid0(VALU_DEP_1) | instskip(NEXT) | instid1(VALU_DEP_1)
	v_add_f64_e32 v[30:31], v[30:31], v[32:33]
	v_add_f64_e32 v[32:33], v[34:35], v[30:31]
	s_delay_alu instid0(VALU_DEP_1) | instskip(NEXT) | instid1(VALU_DEP_1)
	v_add_f64_e64 v[34:35], v[32:33], -v[34:35]
	v_add_f64_e64 v[30:31], v[30:31], -v[34:35]
	v_mul_f64_e32 v[34:35], v[18:19], v[32:33]
	s_delay_alu instid0(VALU_DEP_1) | instskip(SKIP_1) | instid1(VALU_DEP_2)
	v_fma_f64 v[32:33], v[18:19], v[32:33], -v[34:35]
	v_cmp_class_f64_e64 vcc_lo, v[34:35], 0x204
	v_fmac_f64_e32 v[32:33], v[18:19], v[30:31]
	s_delay_alu instid0(VALU_DEP_1) | instskip(NEXT) | instid1(VALU_DEP_1)
	v_add_f64_e32 v[30:31], v[34:35], v[32:33]
	v_add_f64_e64 v[36:37], v[30:31], -v[34:35]
	v_dual_cndmask_b32 v31, v31, v35 :: v_dual_cndmask_b32 v30, v30, v34
	s_delay_alu instid0(VALU_DEP_1) | instskip(SKIP_3) | instid1(VALU_DEP_4)
	v_mul_f64_e32 v[34:35], 0x3ff71547652b82fe, v[30:31]
	v_cmp_neq_f64_e64 vcc_lo, 0x7ff00000, |v[30:31]|
	v_cmp_ngt_f64_e64 s0, 0xc090cc00, v[30:31]
	v_add_f64_e64 v[32:33], v[32:33], -v[36:37]
	v_rndne_f64_e32 v[34:35], v[34:35]
	s_delay_alu instid0(VALU_DEP_2) | instskip(SKIP_1) | instid1(VALU_DEP_3)
	v_dual_cndmask_b32 v33, 0, v33 :: v_dual_cndmask_b32 v32, 0, v32
	v_cmp_nlt_f64_e32 vcc_lo, 0x40900000, v[30:31]
	v_fmamk_f64 v[36:37], v[34:35], 0xbfe62e42fefa39ef, v[30:31]
	s_delay_alu instid0(VALU_DEP_1) | instskip(SKIP_1) | instid1(VALU_DEP_2)
	v_fmac_f64_e32 v[36:37], 0xbc7abc9e3b39803f, v[34:35]
	v_cvt_i32_f64_e32 v34, v[34:35]
	v_fmamk_f64 v[38:39], v[36:37], 0x3e5ade156a5dcb37, v[16:17]
	s_delay_alu instid0(VALU_DEP_1) | instskip(NEXT) | instid1(VALU_DEP_1)
	v_fmaak_f64 v[38:39], v[36:37], v[38:39], 0x3ec71dee623fde64
	v_fmaak_f64 v[38:39], v[36:37], v[38:39], 0x3efa01997c89e6b0
	s_delay_alu instid0(VALU_DEP_1) | instskip(NEXT) | instid1(VALU_DEP_1)
	v_fmaak_f64 v[38:39], v[36:37], v[38:39], 0x3f2a01a014761f6e
	v_fmaak_f64 v[38:39], v[36:37], v[38:39], 0x3f56c16c1852b7b0
	;; [unrolled: 3-line block ×4, first 2 shown]
	s_delay_alu instid0(VALU_DEP_1) | instskip(NEXT) | instid1(VALU_DEP_1)
	v_fma_f64 v[38:39], v[36:37], v[38:39], 1.0
	v_fma_f64 v[36:37], v[36:37], v[38:39], 1.0
	s_delay_alu instid0(VALU_DEP_1) | instskip(NEXT) | instid1(VALU_DEP_1)
	v_ldexp_f64 v[34:35], v[36:37], v34
	v_cndmask_b32_e32 v35, 0x7ff00000, v35, vcc_lo
	s_and_b32 vcc_lo, s0, vcc_lo
	s_delay_alu instid0(VALU_DEP_1) | instid1(SALU_CYCLE_1)
	v_dual_cndmask_b32 v30, 0, v34, vcc_lo :: v_dual_cndmask_b32 v31, 0, v35, s0
	s_delay_alu instid0(VALU_DEP_1) | instskip(SKIP_1) | instid1(VALU_DEP_2)
	v_fma_f64 v[32:33], v[30:31], v[32:33], v[30:31]
	v_cmp_class_f64_e64 vcc_lo, v[30:31], 0x204
	v_dual_cndmask_b32 v34, v32, v30 :: v_dual_cndmask_b32 v35, v33, v31
	v_trunc_f64_e32 v[30:31], v[18:19]
	s_delay_alu instid0(VALU_DEP_1) | instskip(SKIP_1) | instid1(VALU_DEP_1)
	v_cmp_eq_f64_e32 vcc_lo, v[30:31], v[18:19]
	v_mul_f64_e32 v[30:31], 0.5, v[18:19]
	v_trunc_f64_e32 v[32:33], v[30:31]
	s_delay_alu instid0(VALU_DEP_1) | instskip(SKIP_1) | instid1(VALU_DEP_1)
	v_cmp_neq_f64_e64 s0, v[32:33], v[30:31]
	v_cndmask_b32_e32 v31, 0, v34, vcc_lo
	v_cndmask_b32_e64 v31, v34, v31, s1
	s_and_b32 s0, vcc_lo, s0
	s_delay_alu instid0(SALU_CYCLE_1) | instskip(SKIP_1) | instid1(VALU_DEP_2)
	v_cndmask_b32_e64 v19, 0x3ff00000, v27, s0
	v_cndmask_b32_e64 v32, 0, v27, s0
	v_bfi_b32 v19, 0x7fffffff, v35, v19
	s_delay_alu instid0(VALU_DEP_1) | instskip(SKIP_1) | instid1(VALU_DEP_2)
	v_cndmask_b32_e32 v30, 0x7ff80000, v19, vcc_lo
	v_cmp_eq_f64_e32 vcc_lo, 0, v[26:27]
	v_cndmask_b32_e64 v19, v19, v30, s1
	v_cmp_class_f64_e64 s1, v[26:27], 0x204
	v_cndmask_b32_e64 v30, 0x7ff00000, 0, vcc_lo
	s_or_b32 s1, vcc_lo, s1
	v_cmp_o_f64_e32 vcc_lo, v[26:27], v[26:27]
	s_delay_alu instid0(VALU_DEP_2) | instskip(NEXT) | instid1(VALU_DEP_1)
	v_bfi_b32 v30, 0x7fffffff, v30, v32
	v_cndmask_b32_e64 v19, v19, v30, s1
	v_cndmask_b32_e64 v30, v31, 0, s1
	s_delay_alu instid0(VALU_DEP_1) | instskip(NEXT) | instid1(VALU_DEP_3)
	v_cndmask_b32_e32 v26, 0, v30, vcc_lo
	v_cndmask_b32_e32 v27, 0x7ff80000, v19, vcc_lo
	s_delay_alu instid0(VALU_DEP_1) | instskip(NEXT) | instid1(VALU_DEP_1)
	v_add_f64_e32 v[26:27], v[28:29], v[26:27]
	v_cmp_ngt_f64_e32 vcc_lo, 1.0, v[26:27]
	s_or_b32 s22, vcc_lo, s22
	s_delay_alu instid0(SALU_CYCLE_1)
	s_and_not1_b32 exec_lo, exec_lo, s22
	s_cbranch_execz .LBB0_6
.LBB0_10:                               ;   Parent Loop BB0_7 Depth=1
                                        ; =>  This Inner Loop Header: Depth=2
	v_mul_hi_i32 v19, 0x834e0b5f, v42
	v_mov_b64_e32 v[28:29], 0
	s_delay_alu instid0(VALU_DEP_2) | instskip(NEXT) | instid1(VALU_DEP_1)
	v_add_nc_u32_e32 v19, v19, v42
	v_dual_lshrrev_b32 v26, 31, v19 :: v_dual_ashrrev_i32 v19, 16, v19
	s_delay_alu instid0(VALU_DEP_1) | instskip(NEXT) | instid1(VALU_DEP_1)
	v_add_nc_u32_e32 v19, v19, v26
	v_mad_i32_i24 v26, 0xfffe0ce3, v19, v42
	v_mul_i32_i24_e32 v19, 0xfffff4ec, v19
	s_delay_alu instid0(VALU_DEP_1) | instskip(NEXT) | instid1(VALU_DEP_1)
	v_mad_u32 v19, 0x41a7, v26, v19
	v_add_nc_u32_e32 v26, 0x7fffffff, v19
	v_cmp_gt_i32_e32 vcc_lo, 0, v19
	s_delay_alu instid0(VALU_DEP_2) | instskip(NEXT) | instid1(VALU_DEP_1)
	v_cndmask_b32_e32 v19, v19, v26, vcc_lo
	v_cvt_f64_i32_e32 v[26:27], v19
	s_delay_alu instid0(VALU_DEP_1) | instskip(NEXT) | instid1(VALU_DEP_1)
	v_mul_f64_e32 v[26:27], 0x3e000000001c5f68, v[26:27]
	v_cmp_gt_f64_e32 vcc_lo, 0.5, v[26:27]
	v_mov_b64_e32 v[26:27], 0
	s_and_saveexec_b32 s0, vcc_lo
	s_cbranch_execz .LBB0_14
; %bb.11:                               ;   in Loop: Header=BB0_10 Depth=2
	v_mul_hi_i32 v28, 0x834e0b5f, v19
	s_delay_alu instid0(VALU_DEP_1) | instskip(NEXT) | instid1(VALU_DEP_1)
	v_add_nc_u32_e32 v28, v28, v19
	v_dual_lshrrev_b32 v29, 31, v28 :: v_dual_ashrrev_i32 v28, 16, v28
	s_delay_alu instid0(VALU_DEP_1) | instskip(NEXT) | instid1(VALU_DEP_1)
	v_add_nc_u32_e32 v28, v28, v29
	v_mad_i32_i24 v19, 0xfffe0ce3, v28, v19
	v_mul_i32_i24_e32 v28, 0xfffff4ec, v28
	s_delay_alu instid0(VALU_DEP_1) | instskip(NEXT) | instid1(VALU_DEP_1)
	v_mad_u32 v19, 0x41a7, v19, v28
	v_add_nc_u32_e32 v28, 0x7fffffff, v19
	v_cmp_gt_i32_e32 vcc_lo, 0, v19
	s_delay_alu instid0(VALU_DEP_2) | instskip(NEXT) | instid1(VALU_DEP_1)
	v_cndmask_b32_e32 v19, v19, v28, vcc_lo
	v_cvt_f64_i32_e32 v[28:29], v19
	s_delay_alu instid0(VALU_DEP_1) | instskip(NEXT) | instid1(VALU_DEP_1)
	v_fma_f64 v[28:29], v[28:29], s[4:5], -0.5
	v_cmp_gt_f64_e32 vcc_lo, 0, v[28:29]
	v_mov_b64_e32 v[28:29], s[18:19]
	s_and_saveexec_b32 s1, vcc_lo
; %bb.12:                               ;   in Loop: Header=BB0_10 Depth=2
	v_mov_b64_e32 v[28:29], s[20:21]
; %bb.13:                               ;   in Loop: Header=BB0_10 Depth=2
	s_or_b32 exec_lo, exec_lo, s1
.LBB0_14:                               ;   in Loop: Header=BB0_10 Depth=2
	s_delay_alu instid0(SALU_CYCLE_1) | instskip(SKIP_2) | instid1(VALU_DEP_1)
	s_or_b32 exec_lo, exec_lo, s0
	v_mul_hi_i32 v30, 0x834e0b5f, v19
	s_mov_b32 s0, exec_lo
	v_add_nc_u32_e32 v30, v30, v19
	s_delay_alu instid0(VALU_DEP_1) | instskip(NEXT) | instid1(VALU_DEP_1)
	v_dual_lshrrev_b32 v31, 31, v30 :: v_dual_ashrrev_i32 v30, 16, v30
	v_add_nc_u32_e32 v30, v30, v31
	s_delay_alu instid0(VALU_DEP_1) | instskip(SKIP_1) | instid1(VALU_DEP_1)
	v_mad_i32_i24 v19, 0xfffe0ce3, v30, v19
	v_mul_i32_i24_e32 v30, 0xfffff4ec, v30
	v_mad_u32 v19, 0x41a7, v19, v30
	s_delay_alu instid0(VALU_DEP_1) | instskip(SKIP_1) | instid1(VALU_DEP_2)
	v_add_nc_u32_e32 v30, 0x7fffffff, v19
	v_cmp_gt_i32_e32 vcc_lo, 0, v19
	v_cndmask_b32_e32 v42, v19, v30, vcc_lo
	s_delay_alu instid0(VALU_DEP_1) | instskip(NEXT) | instid1(VALU_DEP_1)
	v_cvt_f64_i32_e32 v[30:31], v42
	v_mul_f64_e32 v[30:31], 0x3e000000001c5f68, v[30:31]
	s_delay_alu instid0(VALU_DEP_1)
	v_cmpx_gt_f64_e32 0.5, v[30:31]
	s_cbranch_execz .LBB0_9
; %bb.15:                               ;   in Loop: Header=BB0_10 Depth=2
	v_mul_hi_i32 v19, 0x834e0b5f, v42
	s_delay_alu instid0(VALU_DEP_1) | instskip(NEXT) | instid1(VALU_DEP_1)
	v_add_nc_u32_e32 v19, v19, v42
	v_dual_lshrrev_b32 v26, 31, v19 :: v_dual_ashrrev_i32 v19, 16, v19
	s_delay_alu instid0(VALU_DEP_1) | instskip(NEXT) | instid1(VALU_DEP_1)
	v_add_nc_u32_e32 v19, v19, v26
	v_mad_i32_i24 v26, 0xfffe0ce3, v19, v42
	v_mul_i32_i24_e32 v19, 0xfffff4ec, v19
	s_delay_alu instid0(VALU_DEP_1) | instskip(NEXT) | instid1(VALU_DEP_1)
	v_mad_u32 v19, 0x41a7, v26, v19
	v_add_nc_u32_e32 v26, 0x7fffffff, v19
	v_cmp_gt_i32_e32 vcc_lo, 0, v19
	s_delay_alu instid0(VALU_DEP_2) | instskip(NEXT) | instid1(VALU_DEP_1)
	v_cndmask_b32_e32 v42, v19, v26, vcc_lo
	v_cvt_f64_i32_e32 v[26:27], v42
	s_delay_alu instid0(VALU_DEP_1) | instskip(NEXT) | instid1(VALU_DEP_1)
	v_fma_f64 v[26:27], v[26:27], s[4:5], -0.5
	v_cmp_gt_f64_e32 vcc_lo, 0, v[26:27]
	v_mov_b64_e32 v[26:27], s[18:19]
	s_and_saveexec_b32 s1, vcc_lo
	s_cbranch_execz .LBB0_8
; %bb.16:                               ;   in Loop: Header=BB0_10 Depth=2
	v_mov_b64_e32 v[26:27], s[20:21]
	s_branch .LBB0_8
.LBB0_17:
	v_mov_b64_e32 v[6:7], 0
.LBB0_18:
	v_cvt_f64_i32_e32 v[0:1], s11
	v_add_f64_e32 v[4:5], -1.0, v[4:5]
	s_mov_b32 s4, exec_lo
	s_delay_alu instid0(VALU_DEP_2) | instskip(NEXT) | instid1(VALU_DEP_2)
	v_div_scale_f64 v[8:9], null, v[0:1], v[0:1], v[6:7]
	v_mul_f64_e32 v[2:3], 0x3ff71547652b82fe, v[4:5]
	v_div_scale_f64 v[20:21], vcc_lo, v[6:7], v[0:1], v[6:7]
	s_wait_xcnt 0x0
	v_cmp_ngt_f64_e64 s0, 0xc090cc00, v[4:5]
	s_delay_alu instid0(VALU_DEP_4) | instskip(NEXT) | instid1(VALU_DEP_3)
	v_rcp_f64_e32 v[10:11], v[8:9]
	v_rndne_f64_e32 v[12:13], v[2:3]
	s_delay_alu instid0(VALU_DEP_1) | instskip(SKIP_1) | instid1(TRANS32_DEP_1)
	v_fmamk_f64 v[14:15], v[12:13], 0xbfe62e42fefa39ef, v[4:5]
	v_cvt_i32_f64_e32 v22, v[12:13]
	v_fma_f64 v[2:3], -v[8:9], v[10:11], 1.0
	s_delay_alu instid0(VALU_DEP_3) | instskip(NEXT) | instid1(VALU_DEP_2)
	v_fmac_f64_e32 v[14:15], 0xbc7abc9e3b39803f, v[12:13]
	v_fmac_f64_e32 v[10:11], v[10:11], v[2:3]
	v_mov_b64_e32 v[2:3], 0x3e928af3fca7ab0c
	s_delay_alu instid0(VALU_DEP_1) | instskip(NEXT) | instid1(VALU_DEP_1)
	v_fmamk_f64 v[16:17], v[14:15], 0x3e5ade156a5dcb37, v[2:3]
	v_fmaak_f64 v[16:17], v[14:15], v[16:17], 0x3ec71dee623fde64
	s_delay_alu instid0(VALU_DEP_1) | instskip(NEXT) | instid1(VALU_DEP_1)
	v_fmaak_f64 v[16:17], v[14:15], v[16:17], 0x3efa01997c89e6b0
	v_fmaak_f64 v[16:17], v[14:15], v[16:17], 0x3f2a01a014761f6e
	v_fma_f64 v[18:19], -v[8:9], v[10:11], 1.0
	s_delay_alu instid0(VALU_DEP_2) | instskip(NEXT) | instid1(VALU_DEP_1)
	v_fmaak_f64 v[16:17], v[14:15], v[16:17], 0x3f56c16c1852b7b0
	v_fmaak_f64 v[16:17], v[14:15], v[16:17], 0x3f81111111122322
	s_delay_alu instid0(VALU_DEP_1) | instskip(NEXT) | instid1(VALU_DEP_1)
	v_fmaak_f64 v[16:17], v[14:15], v[16:17], 0x3fa55555555502a1
	v_fmaak_f64 v[16:17], v[14:15], v[16:17], 0x3fc5555555555511
	s_delay_alu instid0(VALU_DEP_1) | instskip(SKIP_1) | instid1(VALU_DEP_2)
	v_fmaak_f64 v[16:17], v[14:15], v[16:17], 0x3fe000000000000b
	v_fmac_f64_e32 v[10:11], v[10:11], v[18:19]
	v_fma_f64 v[16:17], v[14:15], v[16:17], 1.0
	s_delay_alu instid0(VALU_DEP_1) | instskip(NEXT) | instid1(VALU_DEP_1)
	v_fma_f64 v[12:13], v[14:15], v[16:17], 1.0
	v_ldexp_f64 v[12:13], v[12:13], v22
	s_delay_alu instid0(VALU_DEP_4) | instskip(NEXT) | instid1(VALU_DEP_1)
	v_mul_f64_e32 v[18:19], v[20:21], v[10:11]
	v_fma_f64 v[8:9], -v[8:9], v[18:19], v[20:21]
	s_delay_alu instid0(VALU_DEP_1) | instskip(SKIP_1) | instid1(VALU_DEP_2)
	v_div_fmas_f64 v[8:9], v[8:9], v[10:11], v[18:19]
	v_cmp_nlt_f64_e32 vcc_lo, 0x40900000, v[4:5]
	v_div_fixup_f64 v[0:1], v[8:9], v[0:1], v[6:7]
	v_cndmask_b32_e32 v10, 0x7ff00000, v13, vcc_lo
	s_and_b32 vcc_lo, s0, vcc_lo
	s_delay_alu instid0(VALU_DEP_1) | instid1(SALU_CYCLE_1)
	v_dual_cndmask_b32 v4, 0, v12, vcc_lo :: v_dual_cndmask_b32 v5, 0, v10, s0
	s_mov_b64 s[0:1], 0x3fe5555555555555
	s_delay_alu instid0(VALU_DEP_1) | instskip(NEXT) | instid1(VALU_DEP_1)
	v_add_f64_e64 v[0:1], v[4:5], -v[0:1]
	v_frexp_mant_f64_e64 v[4:5], |v[0:1]|
	s_delay_alu instid0(VALU_DEP_1) | instskip(SKIP_2) | instid1(VALU_DEP_1)
	v_cmp_gt_f64_e32 vcc_lo, s[0:1], v[4:5]
	s_mov_b64 s[0:1], 0x3fbdee674222de17
	v_cndmask_b32_e64 v6, 0, 1, vcc_lo
	v_ldexp_f64 v[4:5], v[4:5], v6
	s_delay_alu instid0(VALU_DEP_1) | instskip(SKIP_1) | instid1(VALU_DEP_2)
	v_add_f64_e32 v[6:7], 1.0, v[4:5]
	v_add_f64_e32 v[12:13], -1.0, v[4:5]
	v_rcp_f64_e32 v[8:9], v[6:7]
	v_add_f64_e32 v[14:15], -1.0, v[6:7]
	s_delay_alu instid0(VALU_DEP_1) | instskip(NEXT) | instid1(TRANS32_DEP_1)
	v_add_f64_e64 v[4:5], v[4:5], -v[14:15]
	v_fma_f64 v[10:11], -v[6:7], v[8:9], 1.0
	s_delay_alu instid0(VALU_DEP_1) | instskip(NEXT) | instid1(VALU_DEP_1)
	v_fmac_f64_e32 v[8:9], v[10:11], v[8:9]
	v_fma_f64 v[10:11], -v[6:7], v[8:9], 1.0
	s_delay_alu instid0(VALU_DEP_1) | instskip(NEXT) | instid1(VALU_DEP_1)
	v_fmac_f64_e32 v[8:9], v[10:11], v[8:9]
	v_mul_f64_e32 v[10:11], v[12:13], v[8:9]
	s_delay_alu instid0(VALU_DEP_1) | instskip(NEXT) | instid1(VALU_DEP_1)
	v_mul_f64_e32 v[16:17], v[6:7], v[10:11]
	v_fma_f64 v[6:7], v[10:11], v[6:7], -v[16:17]
	s_delay_alu instid0(VALU_DEP_1) | instskip(NEXT) | instid1(VALU_DEP_1)
	v_fmac_f64_e32 v[6:7], v[10:11], v[4:5]
	v_add_f64_e32 v[4:5], v[16:17], v[6:7]
	s_delay_alu instid0(VALU_DEP_1) | instskip(SKIP_1) | instid1(VALU_DEP_2)
	v_add_f64_e64 v[14:15], v[12:13], -v[4:5]
	v_add_f64_e64 v[16:17], v[4:5], -v[16:17]
	;; [unrolled: 1-line block ×3, first 2 shown]
	s_delay_alu instid0(VALU_DEP_2) | instskip(NEXT) | instid1(VALU_DEP_2)
	v_add_f64_e64 v[6:7], v[16:17], -v[6:7]
	v_add_f64_e64 v[4:5], v[12:13], -v[4:5]
	s_delay_alu instid0(VALU_DEP_1) | instskip(NEXT) | instid1(VALU_DEP_1)
	v_add_f64_e32 v[4:5], v[6:7], v[4:5]
	v_add_f64_e32 v[4:5], v[14:15], v[4:5]
	s_delay_alu instid0(VALU_DEP_1) | instskip(NEXT) | instid1(VALU_DEP_1)
	v_mul_f64_e32 v[4:5], v[8:9], v[4:5]
	v_add_f64_e32 v[6:7], v[10:11], v[4:5]
	s_delay_alu instid0(VALU_DEP_1) | instskip(SKIP_1) | instid1(VALU_DEP_2)
	v_add_f64_e64 v[8:9], v[6:7], -v[10:11]
	v_mul_f64_e32 v[10:11], v[6:7], v[6:7]
	v_add_f64_e64 v[4:5], v[4:5], -v[8:9]
	s_delay_alu instid0(VALU_DEP_2) | instskip(NEXT) | instid1(VALU_DEP_2)
	v_fma_f64 v[8:9], v[6:7], v[6:7], -v[10:11]
	v_add_f64_e32 v[12:13], v[4:5], v[4:5]
	s_delay_alu instid0(VALU_DEP_1) | instskip(NEXT) | instid1(VALU_DEP_1)
	v_fmac_f64_e32 v[8:9], v[6:7], v[12:13]
	v_add_f64_e32 v[12:13], v[10:11], v[8:9]
	s_delay_alu instid0(VALU_DEP_1) | instskip(SKIP_3) | instid1(VALU_DEP_3)
	v_fmaak_f64 v[14:15], s[0:1], v[12:13], 0x3fba6564968915a9
	v_add_f64_e64 v[10:11], v[12:13], -v[10:11]
	v_mul_f64_e32 v[20:21], v[6:7], v[12:13]
	s_mov_b64 s[0:1], 0x3fe62e42fefa39ef
	v_fmaak_f64 v[14:15], v[12:13], v[14:15], 0x3fbe25e43abe935a
	s_delay_alu instid0(VALU_DEP_1) | instskip(NEXT) | instid1(VALU_DEP_1)
	v_fmaak_f64 v[14:15], v[12:13], v[14:15], 0x3fc110ef47e6c9c2
	v_fmaak_f64 v[14:15], v[12:13], v[14:15], 0x3fc3b13bcfa74449
	s_delay_alu instid0(VALU_DEP_1) | instskip(SKIP_1) | instid1(VALU_DEP_2)
	v_fmaak_f64 v[14:15], v[12:13], v[14:15], 0x3fc745d171bf3c30
	v_add_f64_e64 v[8:9], v[8:9], -v[10:11]
	v_fmaak_f64 v[14:15], v[12:13], v[14:15], 0x3fcc71c71c7792ce
	s_delay_alu instid0(VALU_DEP_1) | instskip(NEXT) | instid1(VALU_DEP_1)
	v_fmaak_f64 v[14:15], v[12:13], v[14:15], 0x3fd24924924920da
	v_fmaak_f64 v[14:15], v[12:13], v[14:15], 0x3fd999999999999c
	s_delay_alu instid0(VALU_DEP_1) | instskip(NEXT) | instid1(VALU_DEP_1)
	v_mul_f64_e32 v[16:17], v[12:13], v[14:15]
	v_fma_f64 v[10:11], v[12:13], v[14:15], -v[16:17]
	s_delay_alu instid0(VALU_DEP_1) | instskip(NEXT) | instid1(VALU_DEP_1)
	v_fmac_f64_e32 v[10:11], v[8:9], v[14:15]
	v_add_f64_e32 v[14:15], v[16:17], v[10:11]
	s_delay_alu instid0(VALU_DEP_1) | instskip(SKIP_1) | instid1(VALU_DEP_2)
	v_add_f64_e32 v[18:19], 0x3fe5555555555555, v[14:15]
	v_add_f64_e64 v[16:17], v[14:15], -v[16:17]
	v_add_f64_e32 v[22:23], 0xbfe5555555555555, v[18:19]
	s_delay_alu instid0(VALU_DEP_2) | instskip(SKIP_1) | instid1(VALU_DEP_3)
	v_add_f64_e64 v[10:11], v[10:11], -v[16:17]
	v_fma_f64 v[16:17], v[12:13], v[6:7], -v[20:21]
	v_add_f64_e64 v[14:15], v[14:15], -v[22:23]
	s_delay_alu instid0(VALU_DEP_3) | instskip(NEXT) | instid1(VALU_DEP_3)
	v_add_f64_e32 v[10:11], 0x3c8543b0d5df274d, v[10:11]
	v_fmac_f64_e32 v[16:17], v[12:13], v[4:5]
	v_ldexp_f64 v[4:5], v[4:5], 1
	s_delay_alu instid0(VALU_DEP_3) | instskip(NEXT) | instid1(VALU_DEP_3)
	v_add_f64_e32 v[10:11], v[10:11], v[14:15]
	v_fmac_f64_e32 v[16:17], v[8:9], v[6:7]
	v_ldexp_f64 v[6:7], v[6:7], 1
	s_delay_alu instid0(VALU_DEP_3) | instskip(NEXT) | instid1(VALU_DEP_3)
	v_add_f64_e32 v[8:9], v[18:19], v[10:11]
	v_add_f64_e32 v[12:13], v[20:21], v[16:17]
	s_delay_alu instid0(VALU_DEP_2) | instskip(NEXT) | instid1(VALU_DEP_2)
	v_add_f64_e64 v[14:15], v[18:19], -v[8:9]
	v_mul_f64_e32 v[18:19], v[12:13], v[8:9]
	v_add_f64_e64 v[20:21], v[12:13], -v[20:21]
	s_delay_alu instid0(VALU_DEP_3) | instskip(NEXT) | instid1(VALU_DEP_3)
	v_add_f64_e32 v[10:11], v[10:11], v[14:15]
	v_fma_f64 v[14:15], v[12:13], v[8:9], -v[18:19]
	s_delay_alu instid0(VALU_DEP_3) | instskip(NEXT) | instid1(VALU_DEP_2)
	v_add_f64_e64 v[16:17], v[16:17], -v[20:21]
	v_fmac_f64_e32 v[14:15], v[12:13], v[10:11]
	s_delay_alu instid0(VALU_DEP_1) | instskip(SKIP_1) | instid1(VALU_DEP_2)
	v_fmac_f64_e32 v[14:15], v[16:17], v[8:9]
	v_frexp_exp_i32_f64_e32 v16, v[0:1]
	v_add_f64_e32 v[8:9], v[18:19], v[14:15]
	s_delay_alu instid0(VALU_DEP_2) | instskip(SKIP_1) | instid1(VALU_DEP_2)
	v_subrev_co_ci_u32_e64 v16, null, 0, v16, vcc_lo
	v_cmp_eq_f64_e32 vcc_lo, 1.0, v[0:1]
	v_cvt_f64_i32_e32 v[16:17], v16
	s_delay_alu instid0(VALU_DEP_4) | instskip(SKIP_1) | instid1(VALU_DEP_2)
	v_add_f64_e32 v[10:11], v[6:7], v[8:9]
	v_add_f64_e64 v[12:13], v[8:9], -v[18:19]
	v_add_f64_e64 v[6:7], v[10:11], -v[6:7]
	s_delay_alu instid0(VALU_DEP_2) | instskip(SKIP_1) | instid1(VALU_DEP_3)
	v_add_f64_e64 v[12:13], v[14:15], -v[12:13]
	v_mul_f64_e32 v[14:15], 0x3fe62e42fefa39ef, v[16:17]
	v_add_f64_e64 v[6:7], v[8:9], -v[6:7]
	s_delay_alu instid0(VALU_DEP_3) | instskip(NEXT) | instid1(VALU_DEP_3)
	v_add_f64_e32 v[4:5], v[4:5], v[12:13]
	v_fma_f64 v[8:9], v[16:17], s[0:1], -v[14:15]
	s_delay_alu instid0(VALU_DEP_2) | instskip(NEXT) | instid1(VALU_DEP_2)
	v_add_f64_e32 v[4:5], v[4:5], v[6:7]
	v_fmamk_f64 v[6:7], v[16:17], 0x3c7abc9e3b39803f, v[8:9]
	s_delay_alu instid0(VALU_DEP_1) | instskip(NEXT) | instid1(VALU_DEP_3)
	v_add_f64_e32 v[8:9], v[14:15], v[6:7]
	v_add_f64_e32 v[12:13], v[10:11], v[4:5]
	s_delay_alu instid0(VALU_DEP_2) | instskip(NEXT) | instid1(VALU_DEP_2)
	v_add_f64_e64 v[14:15], v[8:9], -v[14:15]
	v_add_f64_e32 v[16:17], v[8:9], v[12:13]
	v_add_f64_e64 v[10:11], v[12:13], -v[10:11]
	s_delay_alu instid0(VALU_DEP_3) | instskip(NEXT) | instid1(VALU_DEP_3)
	v_add_f64_e64 v[6:7], v[6:7], -v[14:15]
	v_add_f64_e64 v[18:19], v[16:17], -v[8:9]
	s_delay_alu instid0(VALU_DEP_3) | instskip(NEXT) | instid1(VALU_DEP_2)
	v_add_f64_e64 v[4:5], v[4:5], -v[10:11]
	v_add_f64_e64 v[20:21], v[16:17], -v[18:19]
	;; [unrolled: 1-line block ×3, first 2 shown]
	s_delay_alu instid0(VALU_DEP_3) | instskip(SKIP_1) | instid1(VALU_DEP_4)
	v_add_f64_e32 v[12:13], v[6:7], v[4:5]
	v_mov_b64_e32 v[18:19], 0x3ec71dee623fde64
	v_add_f64_e64 v[8:9], v[8:9], -v[20:21]
	s_delay_alu instid0(VALU_DEP_1) | instskip(NEXT) | instid1(VALU_DEP_4)
	v_add_f64_e32 v[8:9], v[10:11], v[8:9]
	v_add_f64_e64 v[10:11], v[12:13], -v[6:7]
	s_delay_alu instid0(VALU_DEP_2) | instskip(NEXT) | instid1(VALU_DEP_2)
	v_add_f64_e32 v[8:9], v[12:13], v[8:9]
	v_add_f64_e64 v[12:13], v[12:13], -v[10:11]
	v_add_f64_e64 v[4:5], v[4:5], -v[10:11]
	s_delay_alu instid0(VALU_DEP_3) | instskip(NEXT) | instid1(VALU_DEP_3)
	v_add_f64_e32 v[14:15], v[16:17], v[8:9]
	v_add_f64_e64 v[6:7], v[6:7], -v[12:13]
	s_delay_alu instid0(VALU_DEP_2) | instskip(NEXT) | instid1(VALU_DEP_2)
	v_add_f64_e64 v[10:11], v[14:15], -v[16:17]
	v_add_f64_e32 v[4:5], v[4:5], v[6:7]
	s_delay_alu instid0(VALU_DEP_2) | instskip(SKIP_1) | instid1(VALU_DEP_2)
	v_dual_add_f64 v[6:7], v[8:9], -v[10:11] :: v_dual_mov_b32 v8, 0
	v_cndmask_b32_e64 v9, 2.0, 0x3ff00000, vcc_lo
	v_add_f64_e32 v[4:5], v[4:5], v[6:7]
	s_delay_alu instid0(VALU_DEP_1) | instskip(NEXT) | instid1(VALU_DEP_1)
	v_add_f64_e32 v[6:7], v[14:15], v[4:5]
	v_add_f64_e64 v[10:11], v[6:7], -v[14:15]
	s_delay_alu instid0(VALU_DEP_4) | instskip(NEXT) | instid1(VALU_DEP_2)
	v_mul_f64_e32 v[12:13], v[8:9], v[6:7]
	v_add_f64_e64 v[4:5], v[4:5], -v[10:11]
	s_delay_alu instid0(VALU_DEP_2) | instskip(SKIP_1) | instid1(VALU_DEP_2)
	v_fma_f64 v[6:7], v[8:9], v[6:7], -v[12:13]
	v_cmp_class_f64_e64 vcc_lo, v[12:13], 0x204
	v_fmac_f64_e32 v[6:7], v[8:9], v[4:5]
	s_delay_alu instid0(VALU_DEP_1) | instskip(NEXT) | instid1(VALU_DEP_1)
	v_add_f64_e32 v[4:5], v[12:13], v[6:7]
	v_dual_cndmask_b32 v11, v5, v13 :: v_dual_cndmask_b32 v10, v4, v12
	v_add_f64_e64 v[4:5], v[4:5], -v[12:13]
	v_mul_f64_e32 v[12:13], 0.5, v[8:9]
	s_delay_alu instid0(VALU_DEP_3)
	v_mul_f64_e32 v[14:15], 0x3ff71547652b82fe, v[10:11]
	v_cmp_nlt_f64_e64 s0, 0x40900000, v[10:11]
	v_cmp_neq_f64_e64 vcc_lo, 0x7ff00000, |v[10:11]|
	v_cmp_ngt_f64_e64 s1, 0xc090cc00, v[10:11]
	v_add_f64_e64 v[4:5], v[6:7], -v[4:5]
	v_trunc_f64_e32 v[6:7], v[8:9]
	v_rndne_f64_e32 v[14:15], v[14:15]
	s_delay_alu instid0(VALU_DEP_3) | instskip(SKIP_1) | instid1(VALU_DEP_2)
	v_dual_cndmask_b32 v5, 0, v5 :: v_dual_cndmask_b32 v4, 0, v4
	s_and_b32 vcc_lo, s1, s0
	v_fmamk_f64 v[16:17], v[14:15], 0xbfe62e42fefa39ef, v[10:11]
	v_trunc_f64_e32 v[10:11], v[12:13]
	s_delay_alu instid0(VALU_DEP_2) | instskip(SKIP_1) | instid1(VALU_DEP_2)
	v_fmac_f64_e32 v[16:17], 0xbc7abc9e3b39803f, v[14:15]
	v_cvt_i32_f64_e32 v14, v[14:15]
	v_fmac_f64_e32 v[2:3], 0x3e5ade156a5dcb37, v[16:17]
	s_delay_alu instid0(VALU_DEP_1) | instskip(SKIP_1) | instid1(VALU_DEP_1)
	v_fmac_f64_e32 v[18:19], v[16:17], v[2:3]
	v_mov_b64_e32 v[2:3], 0x3efa01997c89e6b0
	v_fmac_f64_e32 v[2:3], v[16:17], v[18:19]
	v_mov_b64_e32 v[18:19], 0x3f2a01a014761f6e
	s_delay_alu instid0(VALU_DEP_1) | instskip(SKIP_1) | instid1(VALU_DEP_1)
	v_fmac_f64_e32 v[18:19], v[16:17], v[2:3]
	v_mov_b64_e32 v[2:3], 0x3f56c16c1852b7b0
	v_fmac_f64_e32 v[2:3], v[16:17], v[18:19]
	v_mov_b64_e32 v[18:19], 0x3f81111111122322
	;; [unrolled: 5-line block ×3, first 2 shown]
	s_delay_alu instid0(VALU_DEP_1) | instskip(SKIP_1) | instid1(VALU_DEP_1)
	v_fmac_f64_e32 v[18:19], v[16:17], v[2:3]
	v_mov_b64_e32 v[2:3], 0x3fe000000000000b
	v_fmac_f64_e32 v[2:3], v[16:17], v[18:19]
	s_delay_alu instid0(VALU_DEP_1) | instskip(NEXT) | instid1(VALU_DEP_1)
	v_fma_f64 v[2:3], v[16:17], v[2:3], 1.0
	v_fma_f64 v[2:3], v[16:17], v[2:3], 1.0
	s_delay_alu instid0(VALU_DEP_1) | instskip(NEXT) | instid1(VALU_DEP_1)
	v_ldexp_f64 v[2:3], v[2:3], v14
	v_cndmask_b32_e64 v3, 0x7ff00000, v3, s0
	s_delay_alu instid0(VALU_DEP_2) | instskip(SKIP_2) | instid1(VALU_DEP_4)
	v_cndmask_b32_e32 v2, 0, v2, vcc_lo
	v_cmp_eq_f64_e32 vcc_lo, v[6:7], v[8:9]
	v_cmp_neq_f64_e64 s0, v[10:11], v[12:13]
	v_cndmask_b32_e64 v3, 0, v3, s1
	v_cmp_class_f64_e64 s5, v[0:1], 0x204
	s_delay_alu instid0(VALU_DEP_2) | instskip(SKIP_2) | instid1(SALU_CYCLE_1)
	v_fma_f64 v[4:5], v[2:3], v[4:5], v[2:3]
	v_cmp_class_f64_e64 s1, v[2:3], 0x204
	s_and_b32 s0, vcc_lo, s0
	v_cndmask_b32_e64 v6, 0x3ff00000, v1, s0
	v_dual_cndmask_b32 v7, 0, v1, s0 :: v_dual_cndmask_b32 v3, v5, v3, s1
	v_cndmask_b32_e64 v2, v4, v2, s1
	v_cmp_eq_f64_e64 s1, 0, v[0:1]
	s_delay_alu instid0(VALU_DEP_3) | instskip(NEXT) | instid1(VALU_DEP_3)
	v_bfi_b32 v3, 0x7fffffff, v3, v6
	v_cndmask_b32_e32 v5, 0, v2, vcc_lo
	s_delay_alu instid0(VALU_DEP_2) | instskip(SKIP_2) | instid1(VALU_DEP_1)
	v_cndmask_b32_e32 v4, 0x7ff80000, v3, vcc_lo
	v_cmp_gt_f64_e32 vcc_lo, 0, v[0:1]
	v_cndmask_b32_e64 v6, 0x7ff00000, 0, s1
	v_bfi_b32 v6, 0x7fffffff, v6, v7
	s_delay_alu instid0(VALU_DEP_4)
	v_dual_cndmask_b32 v2, v2, v5 :: v_dual_cndmask_b32 v3, v3, v4
	s_or_b32 vcc_lo, s1, s5
	s_delay_alu instid0(VALU_DEP_1) | instid1(SALU_CYCLE_1)
	v_cndmask_b32_e64 v2, v2, 0, vcc_lo
	s_delay_alu instid0(VALU_DEP_2) | instskip(SKIP_2) | instid1(VALU_DEP_4)
	v_cndmask_b32_e32 v3, v3, v6, vcc_lo
	v_cmp_o_f64_e32 vcc_lo, v[0:1], v[0:1]
	v_mov_b64_e32 v[0:1], 0x8000000000000000
	v_cndmask_b32_e32 v2, 0, v2, vcc_lo
	s_delay_alu instid0(VALU_DEP_4)
	v_cndmask_b32_e32 v3, 0x7ff80000, v3, vcc_lo
.LBB0_19:                               ; =>This Inner Loop Header: Depth=1
	s_ctz_i32_b32 s5, s4
	s_delay_alu instid0(VALU_DEP_1) | instid1(SALU_CYCLE_1)
	v_readlane_b32 s1, v3, s5
	s_delay_alu instid0(VALU_DEP_3) | instskip(NEXT) | instid1(VALU_DEP_1)
	v_readlane_b32 s0, v2, s5
	v_add_f64_e32 v[0:1], s[0:1], v[0:1]
	s_lshl_b32 s0, 1, s5
	s_delay_alu instid0(SALU_CYCLE_1) | instskip(NEXT) | instid1(SALU_CYCLE_1)
	s_and_not1_b32 s4, s4, s0
	s_cmp_lg_u32 s4, 0
	s_cbranch_scc1 .LBB0_19
; %bb.20:
	v_mbcnt_lo_u32_b32 v2, exec_lo, 0
	s_mov_b32 s0, exec_lo
	s_delay_alu instid0(VALU_DEP_1)
	v_cmpx_eq_u32_e32 0, v2
	s_xor_b32 s0, exec_lo, s0
	s_cbranch_execz .LBB0_22
; %bb.21:
	v_mov_b32_e32 v2, 0
	s_wait_kmcnt 0x0
	global_atomic_add_f64 v2, v[0:1], s[2:3] scope:SCOPE_DEV
.LBB0_22:
	s_endpgm
	.section	.rodata,"a",@progbits
	.p2align	6, 0x0
	.amdhsa_kernel _Z2fkiiiiddddPiPd
		.amdhsa_group_segment_fixed_size 0
		.amdhsa_private_segment_fixed_size 0
		.amdhsa_kernarg_size 320
		.amdhsa_user_sgpr_count 2
		.amdhsa_user_sgpr_dispatch_ptr 0
		.amdhsa_user_sgpr_queue_ptr 0
		.amdhsa_user_sgpr_kernarg_segment_ptr 1
		.amdhsa_user_sgpr_dispatch_id 0
		.amdhsa_user_sgpr_kernarg_preload_length 0
		.amdhsa_user_sgpr_kernarg_preload_offset 0
		.amdhsa_user_sgpr_private_segment_size 0
		.amdhsa_wavefront_size32 1
		.amdhsa_uses_dynamic_stack 0
		.amdhsa_enable_private_segment 0
		.amdhsa_system_sgpr_workgroup_id_x 1
		.amdhsa_system_sgpr_workgroup_id_y 1
		.amdhsa_system_sgpr_workgroup_id_z 0
		.amdhsa_system_sgpr_workgroup_info 0
		.amdhsa_system_vgpr_workitem_id 1
		.amdhsa_next_free_vgpr 60
		.amdhsa_next_free_sgpr 23
		.amdhsa_named_barrier_count 0
		.amdhsa_reserve_vcc 1
		.amdhsa_float_round_mode_32 0
		.amdhsa_float_round_mode_16_64 0
		.amdhsa_float_denorm_mode_32 3
		.amdhsa_float_denorm_mode_16_64 3
		.amdhsa_fp16_overflow 0
		.amdhsa_memory_ordered 1
		.amdhsa_forward_progress 1
		.amdhsa_inst_pref_size 133
		.amdhsa_round_robin_scheduling 0
		.amdhsa_exception_fp_ieee_invalid_op 0
		.amdhsa_exception_fp_denorm_src 0
		.amdhsa_exception_fp_ieee_div_zero 0
		.amdhsa_exception_fp_ieee_overflow 0
		.amdhsa_exception_fp_ieee_underflow 0
		.amdhsa_exception_fp_ieee_inexact 0
		.amdhsa_exception_int_div_zero 0
	.end_amdhsa_kernel
	.text
.Lfunc_end0:
	.size	_Z2fkiiiiddddPiPd, .Lfunc_end0-_Z2fkiiiiddddPiPd
                                        ; -- End function
	.set _Z2fkiiiiddddPiPd.num_vgpr, 60
	.set _Z2fkiiiiddddPiPd.num_agpr, 0
	.set _Z2fkiiiiddddPiPd.numbered_sgpr, 23
	.set _Z2fkiiiiddddPiPd.num_named_barrier, 0
	.set _Z2fkiiiiddddPiPd.private_seg_size, 0
	.set _Z2fkiiiiddddPiPd.uses_vcc, 1
	.set _Z2fkiiiiddddPiPd.uses_flat_scratch, 0
	.set _Z2fkiiiiddddPiPd.has_dyn_sized_stack, 0
	.set _Z2fkiiiiddddPiPd.has_recursion, 0
	.set _Z2fkiiiiddddPiPd.has_indirect_call, 0
	.section	.AMDGPU.csdata,"",@progbits
; Kernel info:
; codeLenInByte = 16956
; TotalNumSgprs: 25
; NumVgprs: 60
; ScratchSize: 0
; MemoryBound: 0
; FloatMode: 240
; IeeeMode: 1
; LDSByteSize: 0 bytes/workgroup (compile time only)
; SGPRBlocks: 0
; VGPRBlocks: 3
; NumSGPRsForWavesPerEU: 25
; NumVGPRsForWavesPerEU: 60
; NamedBarCnt: 0
; Occupancy: 16
; WaveLimiterHint : 0
; COMPUTE_PGM_RSRC2:SCRATCH_EN: 0
; COMPUTE_PGM_RSRC2:USER_SGPR: 2
; COMPUTE_PGM_RSRC2:TRAP_HANDLER: 0
; COMPUTE_PGM_RSRC2:TGID_X_EN: 1
; COMPUTE_PGM_RSRC2:TGID_Y_EN: 1
; COMPUTE_PGM_RSRC2:TGID_Z_EN: 0
; COMPUTE_PGM_RSRC2:TIDIG_COMP_CNT: 1
	.text
	.p2alignl 7, 3214868480
	.fill 96, 4, 3214868480
	.section	.AMDGPU.gpr_maximums,"",@progbits
	.set amdgpu.max_num_vgpr, 0
	.set amdgpu.max_num_agpr, 0
	.set amdgpu.max_num_sgpr, 0
	.text
	.type	__hip_cuid_a329aea7beb5a41c,@object ; @__hip_cuid_a329aea7beb5a41c
	.section	.bss,"aw",@nobits
	.globl	__hip_cuid_a329aea7beb5a41c
__hip_cuid_a329aea7beb5a41c:
	.byte	0                               ; 0x0
	.size	__hip_cuid_a329aea7beb5a41c, 1

	.ident	"AMD clang version 22.0.0git (https://github.com/RadeonOpenCompute/llvm-project roc-7.2.4 26084 f58b06dce1f9c15707c5f808fd002e18c2accf7e)"
	.section	".note.GNU-stack","",@progbits
	.addrsig
	.addrsig_sym __hip_cuid_a329aea7beb5a41c
	.amdgpu_metadata
---
amdhsa.kernels:
  - .args:
      - .offset:         0
        .size:           4
        .value_kind:     by_value
      - .offset:         4
        .size:           4
        .value_kind:     by_value
      - .offset:         8
        .size:           4
        .value_kind:     by_value
      - .offset:         12
        .size:           4
        .value_kind:     by_value
      - .offset:         16
        .size:           8
        .value_kind:     by_value
      - .offset:         24
        .size:           8
        .value_kind:     by_value
      - .offset:         32
        .size:           8
        .value_kind:     by_value
      - .offset:         40
        .size:           8
        .value_kind:     by_value
      - .address_space:  global
        .offset:         48
        .size:           8
        .value_kind:     global_buffer
      - .address_space:  global
        .offset:         56
        .size:           8
        .value_kind:     global_buffer
      - .offset:         64
        .size:           4
        .value_kind:     hidden_block_count_x
      - .offset:         68
        .size:           4
        .value_kind:     hidden_block_count_y
      - .offset:         72
        .size:           4
        .value_kind:     hidden_block_count_z
      - .offset:         76
        .size:           2
        .value_kind:     hidden_group_size_x
      - .offset:         78
        .size:           2
        .value_kind:     hidden_group_size_y
      - .offset:         80
        .size:           2
        .value_kind:     hidden_group_size_z
      - .offset:         82
        .size:           2
        .value_kind:     hidden_remainder_x
      - .offset:         84
        .size:           2
        .value_kind:     hidden_remainder_y
      - .offset:         86
        .size:           2
        .value_kind:     hidden_remainder_z
      - .offset:         104
        .size:           8
        .value_kind:     hidden_global_offset_x
      - .offset:         112
        .size:           8
        .value_kind:     hidden_global_offset_y
      - .offset:         120
        .size:           8
        .value_kind:     hidden_global_offset_z
      - .offset:         128
        .size:           2
        .value_kind:     hidden_grid_dims
    .group_segment_fixed_size: 0
    .kernarg_segment_align: 8
    .kernarg_segment_size: 320
    .language:       OpenCL C
    .language_version:
      - 2
      - 0
    .max_flat_workgroup_size: 1024
    .name:           _Z2fkiiiiddddPiPd
    .private_segment_fixed_size: 0
    .sgpr_count:     25
    .sgpr_spill_count: 0
    .symbol:         _Z2fkiiiiddddPiPd.kd
    .uniform_work_group_size: 1
    .uses_dynamic_stack: false
    .vgpr_count:     60
    .vgpr_spill_count: 0
    .wavefront_size: 32
amdhsa.target:   amdgcn-amd-amdhsa--gfx1250
amdhsa.version:
  - 1
  - 2
...

	.end_amdgpu_metadata
